;; amdgpu-corpus repo=ROCm/aiter kind=harvested arch=n/a opt=n/a

/root/src/amdgpu-assembly/repos/ROCm__aiter/hsa/gfx950/mla/mla_a8w8_qh16_qseqlen4_gqaratio16_ps_page.co:	file format elf64-amdgpu

Disassembly of section .text:

0000000000002300 <_ZN5aiter41mla_a8w8_qh16_qseqlen4_gqaratio16_ps_pageE>:
	s_and_b32 s1, s1, 0xffff                                   // 000000002300: 8601FF01 0000FFFF
	s_load_dwordx2 s[28:29], s[0:1], 0xe0                      // 000000002308: C0060700 000000E0
	v_lshrrev_b32_e32 v1, 10, v0                               // 000000002310: 2002008A
	v_lshrrev_b32_e32 v2, 10, v1                               // 000000002314: 2004028A
	v_and_b32_e32 v2, 0x3ff, v2                                // 000000002318: 260404FF 000003FF
	v_and_b32_e32 v1, 0x3ff, v1                                // 000000002320: 260202FF 000003FF
	v_and_b32_e32 v0, 0x3ff, v0                                // 000000002328: 260000FF 000003FF
	v_lshrrev_b32_e32 v3, 6, v0                                // 000000002330: 20060086
	v_and_b32_e32 v0, 63, v0                                   // 000000002334: 260000BF
	s_mov_b32 s2, s2                                           // 000000002338: BE820002
	s_mov_b32 s3, s3                                           // 00000000233C: BE830003
	s_mov_b32 s4, s4                                           // 000000002340: BE840004
	v_readfirstlane_b32 s7, v3                                 // 000000002344: 7E0E0503
	s_waitcnt lgkmcnt(0)                                       // 000000002348: BF8CC07F
	s_and_b32 s29, s29, 0xffff                                 // 00000000234C: 861DFF1D 0000FFFF
	s_load_dwordx2 s[32:33], s[28:29], 0x0                     // 000000002354: C006080E 00000000
	s_load_dwordx2 s[30:31], s[28:29], 0x8                     // 00000000235C: C006078E 00000008
	s_waitcnt lgkmcnt(0)                                       // 000000002364: BF8CC07F
	s_mul_i32 s56, s2, 4                                       // 000000002368: 92388402
	s_and_b32 s33, s33, 0xffff                                 // 00000000236C: 8621FF21 0000FFFF
	s_add_u32 s32, s56, s32                                    // 000000002374: 80202038
	s_addc_u32 s33, 0, s33                                     // 000000002378: 82212180
	s_load_dword s85, s[32:33], 0x0                            // 00000000237C: C0021550 00000000
	s_load_dword s86, s[32:33], 0x4                            // 000000002384: C0021590 00000004
	s_and_b32 s31, s31, 0xffff                                 // 00000000238C: 861FFF1F 0000FFFF
	s_waitcnt lgkmcnt(0)                                       // 000000002394: BF8CC07F
	s_cmp_eq_i32 s85, s86                                      // 000000002398: BF005655
	s_cbranch_scc1 label_153B                                  // 00000000239C: BF851513
	s_mul_i32 s56, s85, 32                                     // 0000000023A0: 9238A055

00000000000023a4 <label_0029>:
	s_waitcnt vmcnt(0) expcnt(0) lgkmcnt(0)                    // 0000000023A4: BF8C0000
	s_barrier                                                  // 0000000023A8: BF8A0000
	s_add_u32 s30, s56, s30                                    // 0000000023AC: 801E1E38
	s_addc_u32 s31, 0, s31                                     // 0000000023B0: 821F1F80
	s_load_dword s87, s[30:31], 0x4                            // 0000000023B4: C00215CF 00000004
	s_load_dword s78, s[30:31], 0x8                            // 0000000023BC: C002138F 00000008
	s_load_dword s79, s[30:31], 0xc                            // 0000000023C4: C00213CF 0000000C
	s_load_dword s46, s[30:31], 0x10                           // 0000000023CC: C0020B8F 00000010
	s_load_dword s47, s[30:31], 0x14                           // 0000000023D4: C0020BCF 00000014
	s_load_dword s62, s[30:31], 0x18                           // 0000000023DC: C0020F8F 00000018
	s_load_dwordx2 s[8:9], s[0:1], 0x0                         // 0000000023E4: C0060200 00000000
	s_load_dwordx2 s[12:13], s[0:1], 0x10                      // 0000000023EC: C0060300 00000010
	s_load_dwordx2 s[16:17], s[0:1], 0x20                      // 0000000023F4: C0060400 00000020
	s_load_dwordx2 s[20:21], s[0:1], 0x30                      // 0000000023FC: C0060500 00000030
	s_load_dwordx2 s[24:25], s[0:1], 0x50                      // 000000002404: C0060600 00000050
	s_load_dword s64, s[0:1], 0x70                             // 00000000240C: C0021000 00000070
	s_load_dword s65, s[0:1], 0x80                             // 000000002414: C0021040 00000080
	s_load_dword s66, s[0:1], 0xa0                             // 00000000241C: C0021080 000000A0
	s_load_dword s68, s[0:1], 0xb0                             // 000000002424: C0021100 000000B0
	s_load_dword s69, s[0:1], 0xc0                             // 00000000242C: C0021140 000000C0
	s_load_dwordx2 s[88:89], s[0:1], 0xf0                      // 000000002434: C0061600 000000F0
	s_load_dwordx2 s[92:93], s[0:1], 0x100                     // 00000000243C: C0061700 00000100
	s_load_dwordx2 s[94:95], s[0:1], 0x110                     // 000000002444: C0061780 00000110
	s_waitcnt lgkmcnt(0)                                       // 00000000244C: BF8CC07F
	s_mov_b32 s65, 16                                          // 000000002450: BEC10090
	s_mul_i32 s75, 0x800, s65                                  // 000000002454: 924B41FF 00000800
	s_mul_i32 s74, 0x240, s65                                  // 00000000245C: 924A41FF 00000240
	s_mul_i32 s56, 4, s65                                      // 000000002464: 92384184
	s_mov_b32 s10, s75                                         // 000000002468: BE8A004B
	s_mov_b32 s18, -16                                         // 00000000246C: BE9200D0
	s_mov_b32 s14, -16                                         // 000000002470: BE8E00D0
	s_mov_b32 s22, -16                                         // 000000002474: BE9600D0
	s_mov_b32 s26, -16                                         // 000000002478: BE9A00D0
	s_mov_b32 s11, 0x20000                                     // 00000000247C: BE8B00FF 00020000
	s_mov_b32 s91, 0x20000                                     // 000000002484: BEDB00FF 00020000
	s_mov_b32 s19, 0x20000                                     // 00000000248C: BE9300FF 00020000
	s_mov_b32 s15, 0x20000                                     // 000000002494: BE8F00FF 00020000
	s_mov_b32 s23, 0x20000                                     // 00000000249C: BE9700FF 00020000
	s_mov_b32 s27, 0x20000                                     // 0000000024A4: BE9B00FF 00020000
	s_and_b32 s9, s9, 0xffff                                   // 0000000024AC: 8609FF09 0000FFFF
	s_and_b32 s89, s89, 0xffff                                 // 0000000024B4: 8659FF59 0000FFFF
	s_and_b32 s17, s17, 0xffff                                 // 0000000024BC: 8611FF11 0000FFFF
	s_and_b32 s13, s13, 0xffff                                 // 0000000024C4: 860DFF0D 0000FFFF
	s_and_b32 s21, s21, 0xffff                                 // 0000000024CC: 8615FF15 0000FFFF
	s_and_b32 s25, s25, 0xffff                                 // 0000000024D4: 8619FF19 0000FFFF
	s_and_b32 s93, s93, 0xffff                                 // 0000000024DC: 865DFF5D 0000FFFF
	s_and_b32 s95, s95, 0xffff                                 // 0000000024E4: 865FFF5F 0000FFFF
	s_or_b32 s9, s9, 0x40000                                   // 0000000024EC: 8709FF09 00040000
	s_or_b32 s89, s89, 0x40000                                 // 0000000024F4: 8759FF59 00040000
	s_or_b32 s17, s17, 0x40000                                 // 0000000024FC: 8711FF11 00040000
	s_or_b32 s13, s13, 0x40000                                 // 000000002504: 870DFF0D 00040000
	s_or_b32 s21, s21, 0x40000                                 // 00000000250C: 8715FF15 00040000
	s_or_b32 s25, s25, 0x40000                                 // 000000002514: 8719FF19 00040000
	s_waitcnt lgkmcnt(0)                                       // 00000000251C: BF8CC07F
	s_mov_b32 s67, 1                                           // 000000002520: BEC30081
	s_mov_b32 s80, 0                                           // 000000002524: BED00080
	s_sub_u32 s81, s79, s78                                    // 000000002528: 80D14E4F
	s_load_dword s96, s[92:93], 0x0                            // 00000000252C: C002182E 00000000
	s_load_dword s97, s[94:95], 0x0                            // 000000002534: C002186F 00000000
	s_lshr_b32 s44, 32, s69                                    // 00000000253C: 8F2C45A0
	s_mul_i32 s73, s44, 4                                      // 000000002540: 9249842C
	s_mul_i32 s73, s73, s67                                    // 000000002544: 92494349
	s_mul_i32 s45, s4, s44                                     // 000000002548: 922D2C04
	s_sub_u32 s72, s47, s46                                    // 00000000254C: 80C82E2F
	s_lshr_b32 s43, s46, s69                                   // 000000002550: 8F2B452E
	s_bfm_b32 s56, s69, 0                                      // 000000002554: 91388045
	s_add_u32 s56, s56, s72                                    // 000000002558: 80384838
	s_lshr_b32 s50, s56, s69                                   // 00000000255C: 8F324538
	s_mov_b32 s56, s72                                         // 000000002560: BEB80048
	s_sub_u32 s82, s56, s81                                    // 000000002564: 80D25138
	s_mov_b32 s58, s62                                         // 000000002568: BEBA003E
	s_add_u32 s82, s82, s58                                    // 00000000256C: 80523A52
	s_add_u32 s57, s82, 8                                      // 000000002570: 80398852
	s_min_u32 s56, s56, s57                                    // 000000002574: 83B83938
	s_lshl_b32 s56, s45, s69                                   // 000000002578: 8E38452D
	s_add_u32 s83, s56, 31                                     // 00000000257C: 80539F38
	s_mul_i32 s84, s67, 32                                     // 000000002580: 9254A043
	s_cmp_le_u32 s50, s45                                      // 000000002584: BF0B2D32
	s_cbranch_scc1 label_153B                                  // 000000002588: BF851498
	s_mul_i32 s56, s50, 4                                      // 00000000258C: 92388432
	s_mov_b32 s26, s56                                         // 000000002590: BE9A0038
	s_mul_i32 s56, s43, 4                                      // 000000002594: 9238842B
	s_add_u32 s24, s56, s24                                    // 000000002598: 80181838
	s_addc_u32 s25, 0, s25                                     // 00000000259C: 82191980
	s_mov_b32 s70, 0                                           // 0000000025A0: BEC60080
	s_lshr_b32 s71, s72, 5                                     // 0000000025A4: 8F478548
	s_and_b32 s48, s72, 31                                     // 0000000025A8: 86309F48
	v_lshrrev_b32_e32 v20, 3, v0                               // 0000000025AC: 20280083
	v_lshlrev_b32_e32 v8, 2, v20                               // 0000000025B0: 24102882
	v_add_u32_e64 v8, v8, s7                                   // 0000000025B4: D1340008 00000F08
	v_lshrrev_b32_e32 v20, s69, v8                             // 0000000025BC: 20281045
	v_bfm_b32 v21, s69, 0                                      // 0000000025C0: D2930015 00010045
	v_and_b32_e32 v9, v21, v8                                  // 0000000025C8: 26121115
	v_add_u32_e32 v20, s45, v20                                // 0000000025CC: 6828282D
	v_lshlrev_b32_e32 v8, 2, v20                               // 0000000025D0: 24102882
	v_mul_u32_u24_e32 v9, 0x240, v9                            // 0000000025D4: 101212FF 00000240
	s_nop 1                                                    // 0000000025DC: BF800001
	buffer_load_dword v10, v8, s[24:27], 0 offen               // 0000000025E0: E0501000 80060A08
	v_add_u32_e32 v8, s73, v8                                  // 0000000025E8: 68101049
	buffer_load_dword v11, v8, s[24:27], 0 offen               // 0000000025EC: E0501000 80060B08
	v_add_u32_e32 v8, s73, v8                                  // 0000000025F4: 68101049
	s_add_u32 s56, s80, s78                                    // 0000000025F8: 80384E50
	v_mov_b32_e32 v20, s56                                     // 0000000025FC: 7E280238
	v_mul_lo_u32 v21, s74, v20                                 // 000000002600: D2850015 0002284A
	v_mul_hi_u32 v22, s74, v20                                 // 000000002608: D2860016 0002284A
	s_nop 2                                                    // 000000002610: BF800002
	v_readfirstlane_b32 s56, v21                               // 000000002614: 7E700515
	v_readfirstlane_b32 s57, v22                               // 000000002618: 7E720516
	s_nop 4                                                    // 00000000261C: BF800004
	s_add_u32 s16, s56, s16                                    // 000000002620: 80101038
	s_addc_u32 s17, s57, s17                                   // 000000002624: 82111139
	s_sub_u32 s56, s81, s80                                    // 000000002628: 80B85051
	s_mul_i32 s56, s56, s74                                    // 00000000262C: 92384A38
	s_mov_b32 s18, s56                                         // 000000002630: BE920038
	s_mul_i32 s56, s7, 0x240                                   // 000000002634: 9238FF07 00000240
	v_lshlrev_b32_e32 v30, 2, v0                               // 00000000263C: 243C0082
	v_add_u32_e32 v30, s56, v30                                // 000000002640: 683C3C38
	s_mul_i32 s56, s7, 0xc20                                   // 000000002644: 9238FF07 00000C20
	s_add_u32 s34, 0, s56                                      // 00000000264C: 80223880
	s_add_u32 s35, 0x3080, s34                                 // 000000002650: 802322FF 00003080
	s_add_u32 s36, 0x3080, s35                                 // 000000002658: 802423FF 00003080
	v_lshrrev_b32_e32 v20, 4, v0                               // 000000002660: 20280084
	v_lshlrev_b32_e32 v21, 4, v20                              // 000000002664: 242A2884
	v_and_b32_e32 v20, 15, v0                                  // 000000002668: 2628008F
	v_lshrrev_b32_e32 v22, 2, v20                              // 00000000266C: 202C2882
	v_mul_i32_i24_e32 v22, 0x300, v22                          // 000000002670: 0C2C2CFF 00000300
	v_add_u32_e32 v21, v22, v21                                // 000000002678: 682A2B16
	v_and_b32_e32 v20, 3, v0                                   // 00000000267C: 26280083
	v_mul_i32_i24_e32 v22, 0xc20, v20                          // 000000002680: 0C2C28FF 00000C20
	v_add_u32_e32 v29, v22, v21                                // 000000002688: 683A2B16
	s_mul_i32 s56, 0x3080, s7                                  // 00000000268C: 923807FF 00003080
	v_add_u32_e64 v29, v29, s56                                // 000000002694: D134001D 0000711D
	s_add_u32 m0, s34, 0                                       // 00000000269C: 807C8022
	v_add_u32_e32 v28, 0, v30                                  // 0000000026A0: 68383C80
	buffer_load_dword v28, s[16:19], 0 offen lds               // 0000000026A4: E0511000 8004001C
	buffer_load_dword v28, s[16:19], 0 offen offset:256 lds    // 0000000026AC: E0511100 8004001C
	buffer_load_dword v28, s[16:19], 0 offen offset:512 lds    // 0000000026B4: E0511200 8004001C
	s_add_u32 m0, m0, 0x300                                    // 0000000026BC: 807CFF7C 00000300
	v_add_u32_e32 v28, 0x900, v28                              // 0000000026C4: 683838FF 00000900
	buffer_load_dword v28, s[16:19], 0 offen lds               // 0000000026CC: E0511000 8004001C
	buffer_load_dword v28, s[16:19], 0 offen offset:256 lds    // 0000000026D4: E0511100 8004001C
	buffer_load_dword v28, s[16:19], 0 offen offset:512 lds    // 0000000026DC: E0511200 8004001C
	s_add_u32 m0, m0, 0x300                                    // 0000000026E4: 807CFF7C 00000300
	v_add_u32_e32 v28, 0x900, v28                              // 0000000026EC: 683838FF 00000900
	buffer_load_dword v28, s[16:19], 0 offen lds               // 0000000026F4: E0511000 8004001C
	buffer_load_dword v28, s[16:19], 0 offen offset:256 lds    // 0000000026FC: E0511100 8004001C
	buffer_load_dword v28, s[16:19], 0 offen offset:512 lds    // 000000002704: E0511200 8004001C
	s_add_u32 m0, m0, 0x300                                    // 00000000270C: 807CFF7C 00000300
	v_add_u32_e32 v28, 0x900, v28                              // 000000002714: 683838FF 00000900
	buffer_load_dword v28, s[16:19], 0 offen lds               // 00000000271C: E0511000 8004001C
	buffer_load_dword v28, s[16:19], 0 offen offset:256 lds    // 000000002724: E0511100 8004001C
	buffer_load_dword v28, s[16:19], 0 offen offset:512 lds    // 00000000272C: E0511200 8004001C
	s_add_u32 m0, m0, 0x300                                    // 000000002734: 807CFF7C 00000300
	v_add_u32_e32 v28, 0x900, v28                              // 00000000273C: 683838FF 00000900
	s_add_u32 m0, s34, 0x3080                                  // 000000002744: 807CFF22 00003080
	v_add_u32_e32 v28, 0x2400, v30                             // 00000000274C: 68383CFF 00002400
	buffer_load_dword v28, s[16:19], 0 offen lds               // 000000002754: E0511000 8004001C
	buffer_load_dword v28, s[16:19], 0 offen offset:256 lds    // 00000000275C: E0511100 8004001C
	buffer_load_dword v28, s[16:19], 0 offen offset:512 lds    // 000000002764: E0511200 8004001C
	s_add_u32 m0, m0, 0x300                                    // 00000000276C: 807CFF7C 00000300
	v_add_u32_e32 v28, 0x900, v28                              // 000000002774: 683838FF 00000900
	buffer_load_dword v28, s[16:19], 0 offen lds               // 00000000277C: E0511000 8004001C
	buffer_load_dword v28, s[16:19], 0 offen offset:256 lds    // 000000002784: E0511100 8004001C
	buffer_load_dword v28, s[16:19], 0 offen offset:512 lds    // 00000000278C: E0511200 8004001C
	s_add_u32 m0, m0, 0x300                                    // 000000002794: 807CFF7C 00000300
	v_add_u32_e32 v28, 0x900, v28                              // 00000000279C: 683838FF 00000900
	buffer_load_dword v28, s[16:19], 0 offen lds               // 0000000027A4: E0511000 8004001C
	buffer_load_dword v28, s[16:19], 0 offen offset:256 lds    // 0000000027AC: E0511100 8004001C
	buffer_load_dword v28, s[16:19], 0 offen offset:512 lds    // 0000000027B4: E0511200 8004001C
	s_add_u32 m0, m0, 0x300                                    // 0000000027BC: 807CFF7C 00000300
	v_add_u32_e32 v28, 0x900, v28                              // 0000000027C4: 683838FF 00000900
	buffer_load_dword v28, s[16:19], 0 offen lds               // 0000000027CC: E0511000 8004001C
	buffer_load_dword v28, s[16:19], 0 offen offset:256 lds    // 0000000027D4: E0511100 8004001C
	buffer_load_dword v28, s[16:19], 0 offen offset:512 lds    // 0000000027DC: E0511200 8004001C
	s_add_u32 m0, m0, 0x300                                    // 0000000027E4: 807CFF7C 00000300
	v_add_u32_e32 v28, 0x900, v28                              // 0000000027EC: 683838FF 00000900
	s_add_u32 m0, s34, 0x6100                                  // 0000000027F4: 807CFF22 00006100
	v_add_u32_e32 v28, 0x4800, v30                             // 0000000027FC: 68383CFF 00004800
	buffer_load_dword v28, s[16:19], 0 offen lds               // 000000002804: E0511000 8004001C
	buffer_load_dword v28, s[16:19], 0 offen offset:256 lds    // 00000000280C: E0511100 8004001C
	buffer_load_dword v28, s[16:19], 0 offen offset:512 lds    // 000000002814: E0511200 8004001C
	s_add_u32 m0, m0, 0x300                                    // 00000000281C: 807CFF7C 00000300
	v_add_u32_e32 v28, 0x900, v28                              // 000000002824: 683838FF 00000900
	buffer_load_dword v28, s[16:19], 0 offen lds               // 00000000282C: E0511000 8004001C
	buffer_load_dword v28, s[16:19], 0 offen offset:256 lds    // 000000002834: E0511100 8004001C
	buffer_load_dword v28, s[16:19], 0 offen offset:512 lds    // 00000000283C: E0511200 8004001C
	s_add_u32 m0, m0, 0x300                                    // 000000002844: 807CFF7C 00000300
	v_add_u32_e32 v28, 0x900, v28                              // 00000000284C: 683838FF 00000900
	buffer_load_dword v28, s[16:19], 0 offen lds               // 000000002854: E0511000 8004001C
	buffer_load_dword v28, s[16:19], 0 offen offset:256 lds    // 00000000285C: E0511100 8004001C
	buffer_load_dword v28, s[16:19], 0 offen offset:512 lds    // 000000002864: E0511200 8004001C
	s_add_u32 m0, m0, 0x300                                    // 00000000286C: 807CFF7C 00000300
	v_add_u32_e32 v28, 0x900, v28                              // 000000002874: 683838FF 00000900
	buffer_load_dword v28, s[16:19], 0 offen lds               // 00000000287C: E0511000 8004001C
	buffer_load_dword v28, s[16:19], 0 offen offset:256 lds    // 000000002884: E0511100 8004001C
	buffer_load_dword v28, s[16:19], 0 offen offset:512 lds    // 00000000288C: E0511200 8004001C
	s_add_u32 m0, m0, 0x300                                    // 000000002894: 807CFF7C 00000300
	v_add_u32_e32 v28, 0x900, v28                              // 00000000289C: 683838FF 00000900
	s_add_u32 m0, s34, 0x9180                                  // 0000000028A4: 807CFF22 00009180
	v_add_u32_e32 v28, 0x6c00, v30                             // 0000000028AC: 68383CFF 00006C00
	buffer_load_dword v28, s[16:19], 0 offen lds               // 0000000028B4: E0511000 8004001C
	buffer_load_dword v28, s[16:19], 0 offen offset:256 lds    // 0000000028BC: E0511100 8004001C
	buffer_load_dword v28, s[16:19], 0 offen offset:512 lds    // 0000000028C4: E0511200 8004001C
	s_add_u32 m0, m0, 0x300                                    // 0000000028CC: 807CFF7C 00000300
	v_add_u32_e32 v28, 0x900, v28                              // 0000000028D4: 683838FF 00000900
	buffer_load_dword v28, s[16:19], 0 offen lds               // 0000000028DC: E0511000 8004001C
	buffer_load_dword v28, s[16:19], 0 offen offset:256 lds    // 0000000028E4: E0511100 8004001C
	buffer_load_dword v28, s[16:19], 0 offen offset:512 lds    // 0000000028EC: E0511200 8004001C
	s_add_u32 m0, m0, 0x300                                    // 0000000028F4: 807CFF7C 00000300
	v_add_u32_e32 v28, 0x900, v28                              // 0000000028FC: 683838FF 00000900
	buffer_load_dword v28, s[16:19], 0 offen lds               // 000000002904: E0511000 8004001C
	buffer_load_dword v28, s[16:19], 0 offen offset:256 lds    // 00000000290C: E0511100 8004001C
	buffer_load_dword v28, s[16:19], 0 offen offset:512 lds    // 000000002914: E0511200 8004001C
	s_add_u32 m0, m0, 0x300                                    // 00000000291C: 807CFF7C 00000300
	v_add_u32_e32 v28, 0x900, v28                              // 000000002924: 683838FF 00000900
	buffer_load_dword v28, s[16:19], 0 offen lds               // 00000000292C: E0511000 8004001C
	buffer_load_dword v28, s[16:19], 0 offen offset:256 lds    // 000000002934: E0511100 8004001C
	buffer_load_dword v28, s[16:19], 0 offen offset:512 lds    // 00000000293C: E0511200 8004001C
	s_add_u32 m0, m0, 0x300                                    // 000000002944: 807CFF7C 00000300
	v_add_u32_e32 v28, 0x900, v28                              // 00000000294C: 683838FF 00000900
	s_waitcnt vmcnt(0)                                         // 000000002954: BF8C0F70
	s_barrier                                                  // 000000002958: BF8A0000
	ds_read_b128 a[0:3], v29                                   // 00000000295C: DBFE0000 0000001D
	ds_read_b128 a[4:7], v29 offset:64                         // 000000002964: DBFE0040 0400001D
	ds_read_b128 a[8:11], v29 offset:128                       // 00000000296C: DBFE0080 0800001D
	ds_read_b128 a[12:15], v29 offset:192                      // 000000002974: DBFE00C0 0C00001D
	ds_read_b128 a[16:19], v29 offset:256                      // 00000000297C: DBFE0100 1000001D
	ds_read_b128 a[20:23], v29 offset:320                      // 000000002984: DBFE0140 1400001D
	ds_read_b128 a[24:27], v29 offset:384                      // 00000000298C: DBFE0180 1800001D
	ds_read_b128 a[28:31], v29 offset:448                      // 000000002994: DBFE01C0 1C00001D
	ds_read_b128 a[32:35], v29 offset:512                      // 00000000299C: DBFE0200 2000001D
	s_mov_b32 s51, 0x7060302                                   // 0000000029A4: BEB300FF 07060302
	s_mov_b32 s52, 0x5010400                                   // 0000000029AC: BEB400FF 05010400
	s_mov_b32 s53, 0x7030602                                   // 0000000029B4: BEB500FF 07030602
	s_mov_b32 s54, 0x5040100                                   // 0000000029BC: BEB600FF 05040100
	s_mov_b32 s55, 0x7060302                                   // 0000000029C4: BEB700FF 07060302
	s_mov_b32 s6, 0x3fb8aa3b                                   // 0000000029CC: BE8600FF 3FB8AA3B
	v_mov_b32_e32 v21, s6                                      // 0000000029D4: 7E2A0206
	v_mov_b32_e32 v20, s64                                     // 0000000029D8: 7E280240
	v_mul_f32_e32 v20, s6, v20                                 // 0000000029DC: 0A282806
	v_rcp_f32_e32 v21, v21                                     // 0000000029E0: 7E2A4515
	v_mov_b32_e32 v12, 0xff7fffff                              // 0000000029E4: 7E1802FF FF7FFFFF
	v_mov_b32_e32 v13, 0xff7fffff                              // 0000000029EC: 7E1A02FF FF7FFFFF
	v_mov_b32_e32 v16, 0                                       // 0000000029F4: 7E200280
	v_mov_b32_e32 v17, 0                                       // 0000000029F8: 7E220280
	v_mov_b32_e32 v14, 0                                       // 0000000029FC: 7E1C0280
	v_mov_b32_e32 v15, 0                                       // 000000002A00: 7E1E0280
	v_mov_b32_e32 v31, s68                                     // 000000002A04: 7E3E0244
	v_readfirstlane_b32 s5, v20                                // 000000002A08: 7E0A0514
	v_readfirstlane_b32 s63, v21                               // 000000002A0C: 7E7E0515
	v_mov_b32_e32 v20, s96                                     // 000000002A10: 7E280260
	v_mul_f32_e32 v20, s97, v20                                // 000000002A14: 0A282861
	v_mul_f32_e32 v21, s5, v20                                 // 000000002A18: 0A2A2805
	v_mul_f32_e32 v23, s64, v20                                // 000000002A1C: 0A2E2840
	v_readfirstlane_b32 s5, v21                                // 000000002A20: 7E0A0515
	v_readfirstlane_b32 s64, v23                               // 000000002A24: 7E800517
	v_and_b32_e32 v2, 15, v0                                   // 000000002A28: 2604008F
	v_lshlrev_b32_e32 v2, 2, v2                                // 000000002A2C: 24040482
	s_mul_i32 s56, 0x100, s7                                   // 000000002A30: 923807FF 00000100
	v_add_u32_e32 v2, s56, v2                                  // 000000002A38: 68040438
	v_lshlrev_b32_e32 v3, 2, v0                                // 000000002A3C: 24060082
	s_mul_i32 s56, 0x100, s7                                   // 000000002A40: 923807FF 00000100
	v_add_u32_e32 v3, s56, v3                                  // 000000002A48: 68060638
	v_and_b32_e32 v20, 15, v0                                  // 000000002A4C: 2628008F
	v_lshlrev_b32_e32 v1, 2, v20                               // 000000002A50: 24022882
	s_mul_i32 s34, s7, 0x920                                   // 000000002A54: 9222FF07 00000920
	s_add_u32 s34, 0, s34                                      // 000000002A5C: 80222280
	s_add_u32 s35, 0x2480, s34                                 // 000000002A60: 802322FF 00002480
	s_add_u32 s36, 0x4900, s34                                 // 000000002A68: 802422FF 00004900
	s_add_u32 s37, 0x4900, s35                                 // 000000002A70: 802523FF 00004900
	s_waitcnt vmcnt(0)                                         // 000000002A78: BF8C0F70
	v_mul_u32_u24_dpp v18, v10, v31 row_newbcast:0 row_mask:0xf bank_mask:0xf// 000000002A7C: 10243EFA FF01500A
	v_mul_u32_u24_dpp v19, v10, v31 row_newbcast:8 row_mask:0xf bank_mask:0xf// 000000002A84: 10263EFA FF01580A
	v_add_u32_dpp v18, v9, v18 row_newbcast:0 row_mask:0xf bank_mask:0xf// 000000002A8C: 682424FA FF015009
	v_add_u32_dpp v19, v9, v19 row_newbcast:8 row_mask:0xf bank_mask:0xf// 000000002A94: 682626FA FF015809
	v_add_u32_e32 v18, v18, v1                                 // 000000002A9C: 68240312
	v_add_u32_e32 v19, v19, v1                                 // 000000002AA0: 68260313
	s_mov_b32 m0, s34                                          // 000000002AA4: BEFC0022
	buffer_load_dword v18, s[20:23], 0 offen lds               // 000000002AA8: E0511000 80050012
	s_add_u32 m0, 0xc0, m0                                     // 000000002AB0: 807C7CFF 000000C0
	buffer_load_dword v18, s[20:23], 0 offen offset:64 lds     // 000000002AB8: E0511040 80050012
	s_add_u32 m0, 0xc0, m0                                     // 000000002AC0: 807C7CFF 000000C0
	buffer_load_dword v18, s[20:23], 0 offen offset:128 lds    // 000000002AC8: E0511080 80050012
	s_add_u32 m0, 0xc0, m0                                     // 000000002AD0: 807C7CFF 000000C0
	buffer_load_dword v18, s[20:23], 0 offen offset:192 lds    // 000000002AD8: E05110C0 80050012
	s_add_u32 m0, 0xc0, m0                                     // 000000002AE0: 807C7CFF 000000C0
	buffer_load_dword v18, s[20:23], 0 offen offset:256 lds    // 000000002AE8: E0511100 80050012
	s_add_u32 m0, 0xc0, m0                                     // 000000002AF0: 807C7CFF 000000C0
	buffer_load_dword v18, s[20:23], 0 offen offset:320 lds    // 000000002AF8: E0511140 80050012
	s_add_u32 m0, 0xc0, m0                                     // 000000002B00: 807C7CFF 000000C0
	buffer_load_dword v18, s[20:23], 0 offen offset:384 lds    // 000000002B08: E0511180 80050012
	s_add_u32 m0, 0xc0, m0                                     // 000000002B10: 807C7CFF 000000C0
	buffer_load_dword v18, s[20:23], 0 offen offset:448 lds    // 000000002B18: E05111C0 80050012
	s_add_u32 m0, 0xc0, m0                                     // 000000002B20: 807C7CFF 000000C0
	buffer_load_dword v18, s[20:23], 0 offen offset:512 lds    // 000000002B28: E0511200 80050012
	s_mov_b32 m0, s35                                          // 000000002B30: BEFC0023
	buffer_load_dword v19, s[20:23], 0 offen lds               // 000000002B34: E0511000 80050013
	s_add_u32 m0, 0xc0, m0                                     // 000000002B3C: 807C7CFF 000000C0
	buffer_load_dword v19, s[20:23], 0 offen offset:64 lds     // 000000002B44: E0511040 80050013
	s_add_u32 m0, 0xc0, m0                                     // 000000002B4C: 807C7CFF 000000C0
	buffer_load_dword v19, s[20:23], 0 offen offset:128 lds    // 000000002B54: E0511080 80050013
	s_add_u32 m0, 0xc0, m0                                     // 000000002B5C: 807C7CFF 000000C0
	buffer_load_dword v19, s[20:23], 0 offen offset:192 lds    // 000000002B64: E05110C0 80050013
	s_add_u32 m0, 0xc0, m0                                     // 000000002B6C: 807C7CFF 000000C0
	buffer_load_dword v19, s[20:23], 0 offen offset:256 lds    // 000000002B74: E0511100 80050013
	s_add_u32 m0, 0xc0, m0                                     // 000000002B7C: 807C7CFF 000000C0
	buffer_load_dword v19, s[20:23], 0 offen offset:320 lds    // 000000002B84: E0511140 80050013
	s_add_u32 m0, 0xc0, m0                                     // 000000002B8C: 807C7CFF 000000C0
	buffer_load_dword v19, s[20:23], 0 offen offset:384 lds    // 000000002B94: E0511180 80050013
	s_add_u32 m0, 0xc0, m0                                     // 000000002B9C: 807C7CFF 000000C0
	buffer_load_dword v19, s[20:23], 0 offen offset:448 lds    // 000000002BA4: E05111C0 80050013
	s_add_u32 m0, 0xc0, m0                                     // 000000002BAC: 807C7CFF 000000C0
	buffer_load_dword v19, s[20:23], 0 offen offset:512 lds    // 000000002BB4: E0511200 80050013
	s_add_u32 m0, 0xc0, m0                                     // 000000002BBC: 807C7CFF 000000C0
	buffer_load_dword v10, v8, s[24:27], 0 offen               // 000000002BC4: E0501000 80060A08
	v_add_u32_e32 v8, s73, v8                                  // 000000002BCC: 68101049
	v_mov_b32_e32 v52, 0                                       // 000000002BD0: 7E680280
	v_mov_b32_e32 v53, 0                                       // 000000002BD4: 7E6A0280
	v_mov_b32_e32 v54, 0                                       // 000000002BD8: 7E6C0280
	v_mov_b32_e32 v55, 0                                       // 000000002BDC: 7E6E0280
	v_mov_b32_e32 v56, 0                                       // 000000002BE0: 7E700280
	v_mov_b32_e32 v57, 0                                       // 000000002BE4: 7E720280
	v_mov_b32_e32 v58, 0                                       // 000000002BE8: 7E740280
	v_mov_b32_e32 v59, 0                                       // 000000002BEC: 7E760280
	v_mov_b32_e32 v60, 0                                       // 000000002BF0: 7E780280
	v_mov_b32_e32 v61, 0                                       // 000000002BF4: 7E7A0280
	v_mov_b32_e32 v62, 0                                       // 000000002BF8: 7E7C0280
	v_mov_b32_e32 v63, 0                                       // 000000002BFC: 7E7E0280
	v_mov_b32_e32 v64, 0                                       // 000000002C00: 7E800280
	v_mov_b32_e32 v65, 0                                       // 000000002C04: 7E820280
	v_mov_b32_e32 v66, 0                                       // 000000002C08: 7E840280
	v_mov_b32_e32 v67, 0                                       // 000000002C0C: 7E860280
	v_mov_b32_e32 v68, 0                                       // 000000002C10: 7E880280
	v_mov_b32_e32 v69, 0                                       // 000000002C14: 7E8A0280
	v_mov_b32_e32 v70, 0                                       // 000000002C18: 7E8C0280
	v_mov_b32_e32 v71, 0                                       // 000000002C1C: 7E8E0280
	v_mov_b32_e32 v72, 0                                       // 000000002C20: 7E900280
	v_mov_b32_e32 v73, 0                                       // 000000002C24: 7E920280
	v_mov_b32_e32 v74, 0                                       // 000000002C28: 7E940280
	v_mov_b32_e32 v75, 0                                       // 000000002C2C: 7E960280
	v_mov_b32_e32 v76, 0                                       // 000000002C30: 7E980280
	v_mov_b32_e32 v77, 0                                       // 000000002C34: 7E9A0280
	v_mov_b32_e32 v78, 0                                       // 000000002C38: 7E9C0280
	v_mov_b32_e32 v79, 0                                       // 000000002C3C: 7E9E0280
	v_mov_b32_e32 v80, 0                                       // 000000002C40: 7EA00280
	v_mov_b32_e32 v81, 0                                       // 000000002C44: 7EA20280
	v_mov_b32_e32 v82, 0                                       // 000000002C48: 7EA40280
	v_mov_b32_e32 v83, 0                                       // 000000002C4C: 7EA60280
	v_mov_b32_e32 v84, 0                                       // 000000002C50: 7EA80280
	v_mov_b32_e32 v85, 0                                       // 000000002C54: 7EAA0280
	v_mov_b32_e32 v86, 0                                       // 000000002C58: 7EAC0280
	v_mov_b32_e32 v87, 0                                       // 000000002C5C: 7EAE0280
	v_mov_b32_e32 v88, 0                                       // 000000002C60: 7EB00280
	v_mov_b32_e32 v89, 0                                       // 000000002C64: 7EB20280
	v_mov_b32_e32 v90, 0                                       // 000000002C68: 7EB40280
	v_mov_b32_e32 v91, 0                                       // 000000002C6C: 7EB60280
	v_mov_b32_e32 v92, 0                                       // 000000002C70: 7EB80280
	v_mov_b32_e32 v93, 0                                       // 000000002C74: 7EBA0280
	v_mov_b32_e32 v94, 0                                       // 000000002C78: 7EBC0280
	v_mov_b32_e32 v95, 0                                       // 000000002C7C: 7EBE0280
	v_mov_b32_e32 v96, 0                                       // 000000002C80: 7EC00280
	v_mov_b32_e32 v97, 0                                       // 000000002C84: 7EC20280
	v_mov_b32_e32 v98, 0                                       // 000000002C88: 7EC40280
	v_mov_b32_e32 v99, 0                                       // 000000002C8C: 7EC60280
	v_mov_b32_e32 v100, 0                                      // 000000002C90: 7EC80280
	v_mov_b32_e32 v101, 0                                      // 000000002C94: 7ECA0280
	v_mov_b32_e32 v102, 0                                      // 000000002C98: 7ECC0280
	v_mov_b32_e32 v103, 0                                      // 000000002C9C: 7ECE0280
	v_mov_b32_e32 v104, 0                                      // 000000002CA0: 7ED00280
	v_mov_b32_e32 v105, 0                                      // 000000002CA4: 7ED20280
	v_mov_b32_e32 v106, 0                                      // 000000002CA8: 7ED40280
	v_mov_b32_e32 v107, 0                                      // 000000002CAC: 7ED60280
	v_mov_b32_e32 v108, 0                                      // 000000002CB0: 7ED80280
	v_mov_b32_e32 v109, 0                                      // 000000002CB4: 7EDA0280
	v_mov_b32_e32 v110, 0                                      // 000000002CB8: 7EDC0280
	v_mov_b32_e32 v111, 0                                      // 000000002CBC: 7EDE0280
	v_mov_b32_e32 v112, 0                                      // 000000002CC0: 7EE00280
	v_mov_b32_e32 v113, 0                                      // 000000002CC4: 7EE20280
	v_mov_b32_e32 v114, 0                                      // 000000002CC8: 7EE40280
	v_mov_b32_e32 v115, 0                                      // 000000002CCC: 7EE60280
	v_mov_b32_e32 v116, 0                                      // 000000002CD0: 7EE80280
	v_mov_b32_e32 v117, 0                                      // 000000002CD4: 7EEA0280
	v_mov_b32_e32 v118, 0                                      // 000000002CD8: 7EEC0280
	v_mov_b32_e32 v119, 0                                      // 000000002CDC: 7EEE0280
	v_mov_b32_e32 v120, 0                                      // 000000002CE0: 7EF00280
	v_mov_b32_e32 v121, 0                                      // 000000002CE4: 7EF20280
	v_mov_b32_e32 v122, 0                                      // 000000002CE8: 7EF40280
	v_mov_b32_e32 v123, 0                                      // 000000002CEC: 7EF60280
	v_mov_b32_e32 v124, 0                                      // 000000002CF0: 7EF80280
	v_mov_b32_e32 v125, 0                                      // 000000002CF4: 7EFA0280
	v_mov_b32_e32 v126, 0                                      // 000000002CF8: 7EFC0280
	v_mov_b32_e32 v127, 0                                      // 000000002CFC: 7EFE0280
	v_mov_b32_e32 v128, 0                                      // 000000002D00: 7F000280
	v_mov_b32_e32 v129, 0                                      // 000000002D04: 7F020280
	v_mov_b32_e32 v130, 0                                      // 000000002D08: 7F040280
	v_mov_b32_e32 v131, 0                                      // 000000002D0C: 7F060280
	v_mov_b32_e32 v132, 0                                      // 000000002D10: 7F080280
	v_mov_b32_e32 v133, 0                                      // 000000002D14: 7F0A0280
	v_mov_b32_e32 v134, 0                                      // 000000002D18: 7F0C0280
	v_mov_b32_e32 v135, 0                                      // 000000002D1C: 7F0E0280
	v_mov_b32_e32 v136, 0                                      // 000000002D20: 7F100280
	v_mov_b32_e32 v137, 0                                      // 000000002D24: 7F120280
	v_mov_b32_e32 v138, 0                                      // 000000002D28: 7F140280
	v_mov_b32_e32 v139, 0                                      // 000000002D2C: 7F160280
	v_mov_b32_e32 v140, 0                                      // 000000002D30: 7F180280
	v_mov_b32_e32 v141, 0                                      // 000000002D34: 7F1A0280
	v_mov_b32_e32 v142, 0                                      // 000000002D38: 7F1C0280
	v_mov_b32_e32 v143, 0                                      // 000000002D3C: 7F1E0280
	v_mov_b32_e32 v144, 0                                      // 000000002D40: 7F200280
	v_mov_b32_e32 v145, 0                                      // 000000002D44: 7F220280
	v_mov_b32_e32 v146, 0                                      // 000000002D48: 7F240280
	v_mov_b32_e32 v147, 0                                      // 000000002D4C: 7F260280
	v_mov_b32_e32 v148, 0                                      // 000000002D50: 7F280280
	v_mov_b32_e32 v149, 0                                      // 000000002D54: 7F2A0280
	v_mov_b32_e32 v150, 0                                      // 000000002D58: 7F2C0280
	v_mov_b32_e32 v151, 0                                      // 000000002D5C: 7F2E0280
	v_mov_b32_e32 v152, 0                                      // 000000002D60: 7F300280
	v_mov_b32_e32 v153, 0                                      // 000000002D64: 7F320280
	v_mov_b32_e32 v154, 0                                      // 000000002D68: 7F340280
	v_mov_b32_e32 v155, 0                                      // 000000002D6C: 7F360280
	v_mov_b32_e32 v156, 0                                      // 000000002D70: 7F380280
	v_mov_b32_e32 v157, 0                                      // 000000002D74: 7F3A0280
	v_mov_b32_e32 v158, 0                                      // 000000002D78: 7F3C0280
	v_mov_b32_e32 v159, 0                                      // 000000002D7C: 7F3E0280
	v_mov_b32_e32 v160, 0                                      // 000000002D80: 7F400280
	v_mov_b32_e32 v161, 0                                      // 000000002D84: 7F420280
	v_mov_b32_e32 v162, 0                                      // 000000002D88: 7F440280
	v_mov_b32_e32 v163, 0                                      // 000000002D8C: 7F460280
	v_mov_b32_e32 v164, 0                                      // 000000002D90: 7F480280
	v_mov_b32_e32 v165, 0                                      // 000000002D94: 7F4A0280
	v_mov_b32_e32 v166, 0                                      // 000000002D98: 7F4C0280
	v_mov_b32_e32 v167, 0                                      // 000000002D9C: 7F4E0280
	v_mov_b32_e32 v168, 0                                      // 000000002DA0: 7F500280
	v_mov_b32_e32 v169, 0                                      // 000000002DA4: 7F520280
	v_mov_b32_e32 v170, 0                                      // 000000002DA8: 7F540280
	v_mov_b32_e32 v171, 0                                      // 000000002DAC: 7F560280
	v_mov_b32_e32 v172, 0                                      // 000000002DB0: 7F580280
	v_mov_b32_e32 v173, 0                                      // 000000002DB4: 7F5A0280
	v_mov_b32_e32 v174, 0                                      // 000000002DB8: 7F5C0280
	v_mov_b32_e32 v175, 0                                      // 000000002DBC: 7F5E0280
	v_mov_b32_e32 v176, 0                                      // 000000002DC0: 7F600280
	v_mov_b32_e32 v177, 0                                      // 000000002DC4: 7F620280
	v_mov_b32_e32 v178, 0                                      // 000000002DC8: 7F640280
	v_mov_b32_e32 v179, 0                                      // 000000002DCC: 7F660280
	v_lshrrev_b32_e32 v20, 4, v0                               // 000000002DD0: 20280084
	v_mul_i32_i24_e32 v21, 16, v20                             // 000000002DD4: 0C2A2890
	v_and_b32_e32 v20, 15, v0                                  // 000000002DD8: 2628008F
	v_and_b32_e32 v22, 3, v20                                  // 000000002DDC: 262C2883
	v_mul_i32_i24_e32 v22, 0x920, v22                          // 000000002DE0: 0C2C2CFF 00000920
	v_add_u32_e32 v4, v22, v21                                 // 000000002DE8: 68082B16
	v_lshrrev_b32_e32 v20, 2, v20                              // 000000002DEC: 20282882
	v_and_b32_e32 v21, 3, v20                                  // 000000002DF0: 262A2883
	v_mul_i32_i24_e32 v21, 64, v21                             // 000000002DF4: 0C2A2AC0
	v_add_u32_e32 v4, v4, v21                                  // 000000002DF8: 68082B04
	v_mul_i32_i24_e32 v5, 4, v0                                // 000000002DFC: 0C0A0084
	s_mul_i32 s56, 0x100, s7                                   // 000000002E00: 923807FF 00000100
	v_add_u32_e64 v5, v5, s56                                  // 000000002E08: D1340005 00007105
	v_lshlrev_b32_e32 v6, 4, v0                                // 000000002E10: 240C0084
	s_mul_i32 s56, 0x800, s7                                   // 000000002E14: 923807FF 00000800
	v_add_u32_e64 v6, v6, s56                                  // 000000002E1C: D1340006 00007106
	v_lshlrev_b32_e32 v7, 4, v0                                // 000000002E24: 240E0084
	v_mul_u32_u24_dpp v18, v11, v31 row_newbcast:0 row_mask:0xf bank_mask:0xf// 000000002E28: 10243EFA FF01500B
	v_mul_u32_u24_dpp v19, v11, v31 row_newbcast:8 row_mask:0xf bank_mask:0xf// 000000002E30: 10263EFA FF01580B
	v_add_u32_dpp v18, v9, v18 row_newbcast:0 row_mask:0xf bank_mask:0xf// 000000002E38: 682424FA FF015009
	v_add_u32_dpp v19, v9, v19 row_newbcast:8 row_mask:0xf bank_mask:0xf// 000000002E40: 682626FA FF015809
	v_add_u32_e32 v18, v18, v1                                 // 000000002E48: 68240312
	v_add_u32_e32 v19, v19, v1                                 // 000000002E4C: 68260313
	buffer_load_dword v11, v8, s[24:27], 0 offen               // 000000002E50: E0501000 80060B08
	v_add_u32_e32 v8, s73, v8                                  // 000000002E58: 68101049
	s_mov_b32 m0, s36                                          // 000000002E5C: BEFC0024
	buffer_load_dword v18, s[20:23], 0 offen lds               // 000000002E60: E0511000 80050012
	s_add_u32 m0, 0xc0, m0                                     // 000000002E68: 807C7CFF 000000C0
	buffer_load_dword v18, s[20:23], 0 offen offset:64 lds     // 000000002E70: E0511040 80050012
	s_add_u32 m0, 0xc0, m0                                     // 000000002E78: 807C7CFF 000000C0
	buffer_load_dword v18, s[20:23], 0 offen offset:128 lds    // 000000002E80: E0511080 80050012
	s_add_u32 m0, 0xc0, m0                                     // 000000002E88: 807C7CFF 000000C0
	buffer_load_dword v18, s[20:23], 0 offen offset:192 lds    // 000000002E90: E05110C0 80050012
	s_add_u32 m0, 0xc0, m0                                     // 000000002E98: 807C7CFF 000000C0
	buffer_load_dword v18, s[20:23], 0 offen offset:256 lds    // 000000002EA0: E0511100 80050012
	s_add_u32 m0, 0xc0, m0                                     // 000000002EA8: 807C7CFF 000000C0
	buffer_load_dword v18, s[20:23], 0 offen offset:320 lds    // 000000002EB0: E0511140 80050012
	s_add_u32 m0, 0xc0, m0                                     // 000000002EB8: 807C7CFF 000000C0
	buffer_load_dword v18, s[20:23], 0 offen offset:384 lds    // 000000002EC0: E0511180 80050012
	s_add_u32 m0, 0xc0, m0                                     // 000000002EC8: 807C7CFF 000000C0
	buffer_load_dword v18, s[20:23], 0 offen offset:448 lds    // 000000002ED0: E05111C0 80050012
	s_add_u32 m0, 0xc0, m0                                     // 000000002ED8: 807C7CFF 000000C0
	buffer_load_dword v18, s[20:23], 0 offen offset:512 lds    // 000000002EE0: E0511200 80050012
	s_mov_b32 m0, s37                                          // 000000002EE8: BEFC0025
	buffer_load_dword v19, s[20:23], 0 offen lds               // 000000002EEC: E0511000 80050013
	s_add_u32 m0, 0xc0, m0                                     // 000000002EF4: 807C7CFF 000000C0
	buffer_load_dword v19, s[20:23], 0 offen offset:64 lds     // 000000002EFC: E0511040 80050013
	s_add_u32 m0, 0xc0, m0                                     // 000000002F04: 807C7CFF 000000C0
	buffer_load_dword v19, s[20:23], 0 offen offset:128 lds    // 000000002F0C: E0511080 80050013
	s_add_u32 m0, 0xc0, m0                                     // 000000002F14: 807C7CFF 000000C0
	buffer_load_dword v19, s[20:23], 0 offen offset:192 lds    // 000000002F1C: E05110C0 80050013
	s_add_u32 m0, 0xc0, m0                                     // 000000002F24: 807C7CFF 000000C0
	buffer_load_dword v19, s[20:23], 0 offen offset:256 lds    // 000000002F2C: E0511100 80050013
	s_add_u32 m0, 0xc0, m0                                     // 000000002F34: 807C7CFF 000000C0
	buffer_load_dword v19, s[20:23], 0 offen offset:320 lds    // 000000002F3C: E0511140 80050013
	s_add_u32 m0, 0xc0, m0                                     // 000000002F44: 807C7CFF 000000C0
	buffer_load_dword v19, s[20:23], 0 offen offset:384 lds    // 000000002F4C: E0511180 80050013
	s_add_u32 m0, 0xc0, m0                                     // 000000002F54: 807C7CFF 000000C0
	buffer_load_dword v19, s[20:23], 0 offen offset:448 lds    // 000000002F5C: E05111C0 80050013
	s_add_u32 m0, 0xc0, m0                                     // 000000002F64: 807C7CFF 000000C0
	buffer_load_dword v19, s[20:23], 0 offen offset:512 lds    // 000000002F6C: E0511200 80050013
	s_add_u32 m0, 0xc0, m0                                     // 000000002F74: 807C7CFF 000000C0
	s_waitcnt vmcnt(19) lgkmcnt(0)                             // 000000002F7C: BF8C4073
	s_barrier                                                  // 000000002F80: BF8A0000
	ds_read_b128 a[36:39], v4                                  // 000000002F84: DBFE0000 24000004
	ds_read_b128 a[40:43], v4 offset:256                       // 000000002F8C: DBFE0100 28000004
	ds_read_b128 a[44:47], v4 offset:512                       // 000000002F94: DBFE0200 2C000004
	ds_read_b128 a[48:51], v4 offset:768                       // 000000002F9C: DBFE0300 30000004
	ds_read_b128 a[52:55], v4 offset:1024                      // 000000002FA4: DBFE0400 34000004
	ds_read_b128 a[56:59], v4 offset:1280                      // 000000002FAC: DBFE0500 38000004
	ds_read_b128 a[60:63], v4 offset:1536                      // 000000002FB4: DBFE0600 3C000004
	ds_read_b128 a[64:67], v4 offset:1792                      // 000000002FBC: DBFE0700 40000004
	ds_read_b128 a[68:71], v4 offset:2048                      // 000000002FC4: DBFE0800 44000004
	ds_read_b128 a[72:75], v4 offset:9344                      // 000000002FCC: DBFE2480 48000004
	ds_read_b128 a[76:79], v4 offset:9600                      // 000000002FD4: DBFE2580 4C000004
	ds_read_b128 a[80:83], v4 offset:9856                      // 000000002FDC: DBFE2680 50000004
	ds_read_b128 a[84:87], v4 offset:10112                     // 000000002FE4: DBFE2780 54000004
	ds_read_b128 a[88:91], v4 offset:10368                     // 000000002FEC: DBFE2880 58000004
	ds_read_b128 a[92:95], v4 offset:10624                     // 000000002FF4: DBFE2980 5C000004
	ds_read_b128 a[96:99], v4 offset:10880                     // 000000002FFC: DBFE2A80 60000004
	ds_read_b128 a[100:103], v4 offset:11136                   // 000000003004: DBFE2B80 64000004
	ds_read_b128 a[104:107], v4 offset:11392                   // 00000000300C: DBFE2C80 68000004
	ds_read_b32 v196, v5                                       // 000000003014: D86C0000 C4000005
	ds_read_b32 v197, v5 offset:2336                           // 00000000301C: D86C0920 C5000005
	ds_read_b32 v198, v5 offset:4672                           // 000000003024: D86C1240 C6000005
	ds_read_b32 v199, v5 offset:7008                           // 00000000302C: D86C1B60 C7000005
	ds_read_b32 v200, v5 offset:9344                           // 000000003034: D86C2480 C8000005
	ds_read_b32 v201, v5 offset:11680                          // 00000000303C: D86C2DA0 C9000005
	ds_read_b32 v202, v5 offset:14016                          // 000000003044: D86C36C0 CA000005
	ds_read_b32 v203, v5 offset:16352                          // 00000000304C: D86C3FE0 CB000005
	s_waitcnt lgkmcnt(0)                                       // 000000003054: BF8CC07F
	v_perm_b32 v212, v197, v196, s52                           // 000000003058: D1ED00D4 00D389C5
	v_perm_b32 v213, v197, v196, s53                           // 000000003060: D1ED00D5 00D789C5
	v_perm_b32 v214, v199, v198, s52                           // 000000003068: D1ED00D6 00D38DC7
	v_perm_b32 v215, v199, v198, s53                           // 000000003070: D1ED00D7 00D78DC7
	v_perm_b32 v180, v214, v212, s54                           // 000000003078: D1ED00B4 00DBA9D6
	v_perm_b32 v182, v214, v212, s55                           // 000000003080: D1ED00B6 00DFA9D6
	v_perm_b32 v184, v215, v213, s54                           // 000000003088: D1ED00B8 00DBABD7
	v_perm_b32 v186, v215, v213, s55                           // 000000003090: D1ED00BA 00DFABD7
	v_perm_b32 v216, v201, v200, s52                           // 000000003098: D1ED00D8 00D391C9
	v_perm_b32 v217, v201, v200, s53                           // 0000000030A0: D1ED00D9 00D791C9
	v_perm_b32 v218, v203, v202, s52                           // 0000000030A8: D1ED00DA 00D395CB
	v_perm_b32 v219, v203, v202, s53                           // 0000000030B0: D1ED00DB 00D795CB
	v_perm_b32 v181, v218, v216, s54                           // 0000000030B8: D1ED00B5 00DBB1DA
	v_perm_b32 v183, v218, v216, s55                           // 0000000030C0: D1ED00B7 00DFB1DA
	v_perm_b32 v185, v219, v217, s54                           // 0000000030C8: D1ED00B9 00DBB3DB
	v_perm_b32 v187, v219, v217, s55                           // 0000000030D0: D1ED00BB 00DFB3DB
	ds_write_b128 v6, v[180:183] offset:37376                  // 0000000030D8: D9BE9200 0000B406
	ds_write_b128 v6, v[184:187] offset:38400                  // 0000000030E0: D9BE9600 0000B806
	ds_read_b32 v204, v5 offset:1024                           // 0000000030E8: D86C0400 CC000005
	ds_read_b32 v205, v5 offset:3360                           // 0000000030F0: D86C0D20 CD000005
	ds_read_b32 v206, v5 offset:5696                           // 0000000030F8: D86C1640 CE000005
	ds_read_b32 v207, v5 offset:8032                           // 000000003100: D86C1F60 CF000005
	ds_read_b32 v208, v5 offset:10368                          // 000000003108: D86C2880 D0000005
	ds_read_b32 v209, v5 offset:12704                          // 000000003110: D86C31A0 D1000005
	ds_read_b32 v210, v5 offset:15040                          // 000000003118: D86C3AC0 D2000005
	ds_read_b32 v211, v5 offset:17376                          // 000000003120: D86C43E0 D3000005
	s_waitcnt lgkmcnt(0)                                       // 000000003128: BF8CC07F
	v_perm_b32 v212, v205, v204, s52                           // 00000000312C: D1ED00D4 00D399CD
	v_perm_b32 v213, v205, v204, s53                           // 000000003134: D1ED00D5 00D799CD
	v_perm_b32 v214, v207, v206, s52                           // 00000000313C: D1ED00D6 00D39DCF
	v_perm_b32 v215, v207, v206, s53                           // 000000003144: D1ED00D7 00D79DCF
	v_perm_b32 v188, v214, v212, s54                           // 00000000314C: D1ED00BC 00DBA9D6
	v_perm_b32 v190, v214, v212, s55                           // 000000003154: D1ED00BE 00DFA9D6
	v_perm_b32 v192, v215, v213, s54                           // 00000000315C: D1ED00C0 00DBABD7
	v_perm_b32 v194, v215, v213, s55                           // 000000003164: D1ED00C2 00DFABD7
	v_perm_b32 v216, v209, v208, s52                           // 00000000316C: D1ED00D8 00D3A1D1
	v_perm_b32 v217, v209, v208, s53                           // 000000003174: D1ED00D9 00D7A1D1
	v_perm_b32 v218, v211, v210, s52                           // 00000000317C: D1ED00DA 00D3A5D3
	v_perm_b32 v219, v211, v210, s53                           // 000000003184: D1ED00DB 00D7A5D3
	v_perm_b32 v189, v218, v216, s54                           // 00000000318C: D1ED00BD 00DBB1DA
	v_perm_b32 v191, v218, v216, s55                           // 000000003194: D1ED00BF 00DFB1DA
	v_perm_b32 v193, v219, v217, s54                           // 00000000319C: D1ED00C1 00DBB3DB
	v_perm_b32 v195, v219, v217, s55                           // 0000000031A4: D1ED00C3 00DFB3DB
	ds_write_b128 v6, v[188:191] offset:45568                  // 0000000031AC: D9BEB200 0000BC06
	ds_write_b128 v6, v[192:195] offset:46592                  // 0000000031B4: D9BEB600 0000C006
	s_nop 0                                                    // 0000000031BC: BF800000
	s_waitcnt vmcnt(0) lgkmcnt(0)                              // 0000000031C0: BF8C0070
	s_barrier                                                  // 0000000031C4: BF8A0000
	ds_read_b128 a[108:111], v7 offset:37376                   // 0000000031C8: DBFE9200 6C000007
	ds_read_b128 a[112:115], v7 offset:38400                   // 0000000031D0: DBFE9600 70000007
	ds_read_b128 a[116:119], v7 offset:39424                   // 0000000031D8: DBFE9A00 74000007
	s_cmp_lt_u32 s71, 1                                        // 0000000031E0: BF0A8147
	s_cbranch_scc1 label_08FC                                  // 0000000031E4: BF850542

00000000000031e8 <label_03BA>:
	s_waitcnt lgkmcnt(9)                                       // 0000000031E8: BF8CC97F
	v_mul_u32_u24_dpp v18, v10, v31 row_newbcast:0 row_mask:0xf bank_mask:0xf// 0000000031EC: 10243EFA FF01500A
	v_mul_u32_u24_dpp v19, v10, v31 row_newbcast:8 row_mask:0xf bank_mask:0xf// 0000000031F4: 10263EFA FF01580A
	v_add_u32_dpp v18, v9, v18 row_newbcast:0 row_mask:0xf bank_mask:0xf// 0000000031FC: 682424FA FF015009
	v_add_u32_dpp v19, v9, v19 row_newbcast:8 row_mask:0xf bank_mask:0xf// 000000003204: 682626FA FF015809
	v_add_u32_e32 v18, v18, v1                                 // 00000000320C: 68240312
	v_add_u32_e32 v19, v19, v1                                 // 000000003210: 68260313
	v_mfma_f32_16x16x32_fp8_fp8 v[32:35], a[36:37], a[0:1], 0  // 000000003214: D3F30020 1A020124
	s_mov_b32 m0, s34                                          // 00000000321C: BEFC0022
	buffer_load_dword v18, s[20:23], 0 offen lds               // 000000003220: E0511000 80050012
	s_add_u32 m0, 0xc0, m0                                     // 000000003228: 807C7CFF 000000C0
	ds_read_b32 v196, v5 offset:18688                          // 000000003230: D86C4900 C4000005
	v_mfma_f32_16x16x32_fp8_fp8 v[32:35], a[38:39], a[2:3], v[32:35]// 000000003238: D3F30020 1C820526
	buffer_load_dword v18, s[20:23], 0 offen offset:64 lds     // 000000003240: E0511040 80050012
	s_add_u32 m0, 0xc0, m0                                     // 000000003248: 807C7CFF 000000C0
	ds_read_b32 v197, v5 offset:21024                          // 000000003250: D86C5220 C5000005
	v_mfma_f32_16x16x32_fp8_fp8 v[32:35], a[40:41], a[4:5], v[32:35]// 000000003258: D3F30020 1C820928
	buffer_load_dword v18, s[20:23], 0 offen offset:128 lds    // 000000003260: E0511080 80050012
	s_add_u32 m0, 0xc0, m0                                     // 000000003268: 807C7CFF 000000C0
	ds_read_b32 v198, v5 offset:23360                          // 000000003270: D86C5B40 C6000005
	v_mfma_f32_16x16x32_fp8_fp8 v[32:35], a[42:43], a[6:7], v[32:35]// 000000003278: D3F30020 1C820D2A
	buffer_load_dword v18, s[20:23], 0 offen offset:192 lds    // 000000003280: E05110C0 80050012
	s_add_u32 m0, 0xc0, m0                                     // 000000003288: 807C7CFF 000000C0
	ds_read_b32 v199, v5 offset:25696                          // 000000003290: D86C6460 C7000005
	v_mfma_f32_16x16x32_fp8_fp8 v[32:35], a[44:45], a[8:9], v[32:35]// 000000003298: D3F30020 1C82112C
	buffer_load_dword v18, s[20:23], 0 offen offset:256 lds    // 0000000032A0: E0511100 80050012
	s_add_u32 m0, 0xc0, m0                                     // 0000000032A8: 807C7CFF 000000C0
	ds_read_b32 v200, v5 offset:28032                          // 0000000032B0: D86C6D80 C8000005
	v_mfma_f32_16x16x32_fp8_fp8 v[32:35], a[46:47], a[10:11], v[32:35]// 0000000032B8: D3F30020 1C82152E
	ds_read_b128 a[120:123], v7 offset:40448                   // 0000000032C0: DBFE9E00 78000007
	v_mfma_f32_16x16x32_fp8_fp8 v[32:35], a[48:49], a[12:13], v[32:35]// 0000000032C8: D3F30020 1C821930
	buffer_load_dword v18, s[20:23], 0 offen offset:320 lds    // 0000000032D0: E0511140 80050012
	s_add_u32 m0, 0xc0, m0                                     // 0000000032D8: 807C7CFF 000000C0
	ds_read_b32 v201, v5 offset:30368                          // 0000000032E0: D86C76A0 C9000005
	v_mfma_f32_16x16x32_fp8_fp8 v[32:35], a[50:51], a[14:15], v[32:35]// 0000000032E8: D3F30020 1C821D32
	ds_read_b128 a[124:127], v7 offset:41472                   // 0000000032F0: DBFEA200 7C000007
	v_mfma_f32_16x16x32_fp8_fp8 v[32:35], a[52:53], a[16:17], v[32:35]// 0000000032F8: D3F30020 1C822134
	buffer_load_dword v18, s[20:23], 0 offen offset:384 lds    // 000000003300: E0511180 80050012
	s_add_u32 m0, 0xc0, m0                                     // 000000003308: 807C7CFF 000000C0
	ds_read_b32 v202, v5 offset:32704                          // 000000003310: D86C7FC0 CA000005
	v_mfma_f32_16x16x32_fp8_fp8 v[32:35], a[54:55], a[18:19], v[32:35]// 000000003318: D3F30020 1C822536
	ds_read_b128 a[128:131], v7 offset:42496                   // 000000003320: DBFEA600 80000007
	v_mfma_f32_16x16x32_fp8_fp8 v[32:35], a[56:57], a[20:21], v[32:35]// 000000003328: D3F30020 1C822938
	buffer_load_dword v18, s[20:23], 0 offen offset:448 lds    // 000000003330: E05111C0 80050012
	s_add_u32 m0, 0xc0, m0                                     // 000000003338: 807C7CFF 000000C0
	ds_read_b32 v203, v5 offset:35040                          // 000000003340: D86C88E0 CB000005
	v_mfma_f32_16x16x32_fp8_fp8 v[32:35], a[58:59], a[22:23], v[32:35]// 000000003348: D3F30020 1C822D3A
	ds_read_b128 a[132:135], v7 offset:43520                   // 000000003350: DBFEAA00 84000007
	v_mfma_f32_16x16x32_fp8_fp8 v[32:35], a[60:61], a[24:25], v[32:35]// 000000003358: D3F30020 1C82313C
	buffer_load_dword v18, s[20:23], 0 offen offset:512 lds    // 000000003360: E0511200 80050012
	s_mov_b32 m0, s35                                          // 000000003368: BEFC0023
	ds_read_b32 v204, v5 offset:19712                          // 00000000336C: D86C4D00 CC000005
	v_mfma_f32_16x16x32_fp8_fp8 v[32:35], a[62:63], a[26:27], v[32:35]// 000000003374: D3F30020 1C82353E
	ds_read_b128 a[136:139], v7 offset:44544                   // 00000000337C: DBFEAE00 88000007
	s_waitcnt lgkmcnt(14)                                      // 000000003384: BF8CCE7F
	v_mfma_f32_16x16x32_fp8_fp8 v[32:35], a[64:65], a[28:29], v[32:35]// 000000003388: D3F30020 1C823940
	buffer_load_dword v19, s[20:23], 0 offen lds               // 000000003390: E0511000 80050013
	s_add_u32 m0, 0xc0, m0                                     // 000000003398: 807C7CFF 000000C0
	ds_read_b32 v205, v5 offset:22048                          // 0000000033A0: D86C5620 CD000005
	v_mfma_f32_16x16x32_fp8_fp8 v[32:35], a[66:67], a[30:31], v[32:35]// 0000000033A8: D3F30020 1C823D42
	v_mfma_f32_16x16x32_fp8_fp8 v[32:35], a[68:69], a[32:33], v[32:35]// 0000000033B0: D3F30020 1C824144
	buffer_load_dword v19, s[20:23], 0 offen offset:64 lds     // 0000000033B8: E0511040 80050013
	s_add_u32 m0, 0xc0, m0                                     // 0000000033C0: 807C7CFF 000000C0
	ds_read_b32 v206, v5 offset:24384                          // 0000000033C8: D86C5F40 CE000005
	v_mfma_f32_16x16x32_fp8_fp8 v[32:35], a[70:71], a[34:35], v[32:35]// 0000000033D0: D3F30020 1C824546
	ds_read_b128 a[140:143], v7 offset:45568                   // 0000000033D8: DBFEB200 8C000007
	v_mfma_f32_16x16x32_fp8_fp8 v[36:39], a[72:73], a[0:1], 0  // 0000000033E0: D3F30024 1A020148
	buffer_load_dword v19, s[20:23], 0 offen offset:128 lds    // 0000000033E8: E0511080 80050013
	s_add_u32 m0, 0xc0, m0                                     // 0000000033F0: 807C7CFF 000000C0
	ds_read_b32 v207, v5 offset:26720                          // 0000000033F8: D86C6860 CF000005
	v_mfma_f32_16x16x32_fp8_fp8 v[36:39], a[74:75], a[2:3], v[36:39]// 000000003400: D3F30024 1C92054A
	v_mfma_f32_16x16x32_fp8_fp8 v[36:39], a[76:77], a[4:5], v[36:39]// 000000003408: D3F30024 1C92094C
	buffer_load_dword v19, s[20:23], 0 offen offset:192 lds    // 000000003410: E05110C0 80050013
	s_add_u32 m0, 0xc0, m0                                     // 000000003418: 807C7CFF 000000C0
	ds_read_b32 v208, v5 offset:29056                          // 000000003420: D86C7180 D0000005
	v_mfma_f32_16x16x32_fp8_fp8 v[36:39], a[78:79], a[6:7], v[36:39]// 000000003428: D3F30024 1C920D4E
	ds_read_b128 a[144:147], v7 offset:46592                   // 000000003430: DBFEB600 90000007
	v_mfma_f32_16x16x32_fp8_fp8 v[36:39], a[80:81], a[8:9], v[36:39]// 000000003438: D3F30024 1C921150
	buffer_load_dword v19, s[20:23], 0 offen offset:256 lds    // 000000003440: E0511100 80050013
	s_add_u32 m0, 0xc0, m0                                     // 000000003448: 807C7CFF 000000C0
	ds_read_b32 v209, v5 offset:31392                          // 000000003450: D86C7AA0 D1000005
	v_mfma_f32_16x16x32_fp8_fp8 v[36:39], a[82:83], a[10:11], v[36:39]// 000000003458: D3F30024 1C921552
	v_mfma_f32_16x16x32_fp8_fp8 v[36:39], a[84:85], a[12:13], v[36:39]// 000000003460: D3F30024 1C921954
	buffer_load_dword v19, s[20:23], 0 offen offset:320 lds    // 000000003468: E0511140 80050013
	s_add_u32 m0, 0xc0, m0                                     // 000000003470: 807C7CFF 000000C0
	ds_read_b32 v210, v5 offset:33728                          // 000000003478: D86C83C0 D2000005
	v_mfma_f32_16x16x32_fp8_fp8 v[36:39], a[86:87], a[14:15], v[36:39]// 000000003480: D3F30024 1C921D56
	ds_read_b128 a[148:151], v7 offset:47616                   // 000000003488: DBFEBA00 94000007
	v_mfma_f32_16x16x32_fp8_fp8 v[36:39], a[88:89], a[16:17], v[36:39]// 000000003490: D3F30024 1C922158
	buffer_load_dword v19, s[20:23], 0 offen offset:384 lds    // 000000003498: E0511180 80050013
	s_add_u32 m0, 0xc0, m0                                     // 0000000034A0: 807C7CFF 000000C0
	ds_read_b32 v211, v5 offset:36064                          // 0000000034A8: D86C8CE0 D3000005
	v_mfma_f32_16x16x32_fp8_fp8 v[36:39], a[90:91], a[18:19], v[36:39]// 0000000034B0: D3F30024 1C92255A
	ds_read_b128 a[152:155], v7 offset:48640                   // 0000000034B8: DBFEBE00 98000007
	v_mfma_f32_16x16x32_fp8_fp8 v[36:39], a[92:93], a[20:21], v[36:39]// 0000000034C0: D3F30024 1C92295C
	buffer_load_dword v19, s[20:23], 0 offen offset:448 lds    // 0000000034C8: E05111C0 80050013
	s_add_u32 m0, 0xc0, m0                                     // 0000000034D0: 807C7CFF 000000C0
	v_mfma_f32_16x16x32_fp8_fp8 v[36:39], a[94:95], a[22:23], v[36:39]// 0000000034D8: D3F30024 1C922D5E
	ds_read_b128 a[156:159], v7 offset:49664                   // 0000000034E0: DBFEC200 9C000007
	v_mfma_f32_16x16x32_fp8_fp8 v[36:39], a[96:97], a[24:25], v[36:39]// 0000000034E8: D3F30024 1C923160
	buffer_load_dword v19, s[20:23], 0 offen offset:512 lds    // 0000000034F0: E0511200 80050013
	s_add_u32 m0, 0xc0, m0                                     // 0000000034F8: 807C7CFF 000000C0
	v_mfma_f32_16x16x32_fp8_fp8 v[36:39], a[98:99], a[26:27], v[36:39]// 000000003500: D3F30024 1C923562
	ds_read_b128 a[160:163], v7 offset:50688                   // 000000003508: DBFEC600 A0000007
	v_mfma_f32_16x16x32_fp8_fp8 v[36:39], a[100:101], a[28:29], v[36:39]// 000000003510: D3F30024 1C923964
	v_mfma_f32_16x16x32_fp8_fp8 v[36:39], a[102:103], a[30:31], v[36:39]// 000000003518: D3F30024 1C923D66
	ds_read_b128 a[164:167], v7 offset:51712                   // 000000003520: DBFECA00 A4000007
	v_mfma_f32_16x16x32_fp8_fp8 v[36:39], a[104:105], a[32:33], v[36:39]// 000000003528: D3F30024 1C924168
	v_mfma_f32_16x16x32_fp8_fp8 v[36:39], a[106:107], a[34:35], v[36:39]// 000000003530: D3F30024 1C92456A
	ds_read_b128 a[168:171], v7 offset:52736                   // 000000003538: DBFECE00 A8000007
	buffer_load_dword v10, v8, s[24:27], 0 offen               // 000000003540: E0501000 80060A08
	v_add_u32_e32 v8, s73, v8                                  // 000000003548: 68101049
	s_cmp_le_i32 s83, s82                                      // 00000000354C: BF055253
	s_cbranch_scc1 label_04CD                                  // 000000003550: BF850038
	v_mov_b32_e32 v237, 0xff800000                             // 000000003554: 7FDA02FF FF800000
	s_add_u32 s57, s82, 0                                      // 00000000355C: 80398052
	v_mov_b32_e32 v236, s57                                    // 000000003560: 7FD80239
	v_add_u32_e32 v236, s7, v236                               // 000000003564: 69D9D807
	s_sub_u32 s56, s83, 31                                     // 000000003568: 80B89F53
	v_lshrrev_b32_e32 v228, 4, v0                              // 00000000356C: 21C80084
	v_mul_i32_i24_e32 v228, 8, v228                            // 000000003570: 0DC9C888
	v_add_u32_e32 v228, s56, v228                              // 000000003574: 69C9C838
	v_add_u32_e32 v229, 1, v228                                // 000000003578: 69CBC881
	v_add_u32_e32 v230, 2, v228                                // 00000000357C: 69CDC882
	v_add_u32_e32 v231, 3, v228                                // 000000003580: 69CFC883
	v_add_u32_e32 v232, 4, v228                                // 000000003584: 69D1C884
	v_add_u32_e32 v233, 5, v228                                // 000000003588: 69D3C885
	v_add_u32_e32 v234, 6, v228                                // 00000000358C: 69D5C886
	v_add_u32_e32 v235, 7, v228                                // 000000003590: 69D7C887
	v_cmp_le_u32_e64 s[38:39], v228, v236                      // 000000003594: D0CB0026 0003D9E4
	s_nop 0                                                    // 00000000359C: BF800000
	v_cndmask_b32_e64 v32, v237, v32, s[38:39]                 // 0000000035A0: D1000020 009A41ED
	v_cmp_le_u32_e64 s[38:39], v229, v236                      // 0000000035A8: D0CB0026 0003D9E5
	s_nop 0                                                    // 0000000035B0: BF800000
	v_cndmask_b32_e64 v33, v237, v33, s[38:39]                 // 0000000035B4: D1000021 009A43ED
	v_cmp_le_u32_e64 s[38:39], v230, v236                      // 0000000035BC: D0CB0026 0003D9E6
	s_nop 0                                                    // 0000000035C4: BF800000
	v_cndmask_b32_e64 v34, v237, v34, s[38:39]                 // 0000000035C8: D1000022 009A45ED
	v_cmp_le_u32_e64 s[38:39], v231, v236                      // 0000000035D0: D0CB0026 0003D9E7
	s_nop 0                                                    // 0000000035D8: BF800000
	v_cndmask_b32_e64 v35, v237, v35, s[38:39]                 // 0000000035DC: D1000023 009A47ED
	v_cmp_le_u32_e64 s[38:39], v232, v236                      // 0000000035E4: D0CB0026 0003D9E8
	s_nop 0                                                    // 0000000035EC: BF800000
	v_cndmask_b32_e64 v36, v237, v36, s[38:39]                 // 0000000035F0: D1000024 009A49ED
	v_cmp_le_u32_e64 s[38:39], v233, v236                      // 0000000035F8: D0CB0026 0003D9E9
	s_nop 0                                                    // 000000003600: BF800000
	v_cndmask_b32_e64 v37, v237, v37, s[38:39]                 // 000000003604: D1000025 009A4BED
	v_cmp_le_u32_e64 s[38:39], v234, v236                      // 00000000360C: D0CB0026 0003D9EA
	s_nop 0                                                    // 000000003614: BF800000
	v_cndmask_b32_e64 v38, v237, v38, s[38:39]                 // 000000003618: D1000026 009A4DED
	v_cmp_le_u32_e64 s[38:39], v235, v236                      // 000000003620: D0CB0026 0003D9EB
	s_nop 0                                                    // 000000003628: BF800000
	v_cndmask_b32_e64 v39, v237, v39, s[38:39]                 // 00000000362C: D1000027 009A4FED

0000000000003634 <label_04CD>:
	v_max3_f32 v24, v32, v33, v34                              // 000000003634: D1D30018 048A4320
	v_max3_f32 v24, v35, v36, v24                              // 00000000363C: D1D30018 04624923
	v_max3_f32 v24, v37, v38, v24                              // 000000003644: D1D30018 04624D25
	v_max3_f32 v24, v38, v39, v24                              // 00000000364C: D1D30018 04624F26
	s_waitcnt lgkmcnt(14)                                      // 000000003654: BF8CCE7F
	ds_write_b32 v3, v24 offset:53760                          // 000000003658: D81AD200 00001803
	v_perm_b32 v212, v197, v196, s52                           // 000000003660: D1ED00D4 00D389C5
	v_perm_b32 v213, v197, v196, s53                           // 000000003668: D1ED00D5 00D789C5
	v_perm_b32 v214, v199, v198, s52                           // 000000003670: D1ED00D6 00D38DC7
	v_perm_b32 v215, v199, v198, s53                           // 000000003678: D1ED00D7 00D78DC7
	v_perm_b32 v180, v214, v212, s54                           // 000000003680: D1ED00B4 00DBA9D6
	v_perm_b32 v182, v214, v212, s55                           // 000000003688: D1ED00B6 00DFA9D6
	v_perm_b32 v184, v215, v213, s54                           // 000000003690: D1ED00B8 00DBABD7
	v_perm_b32 v186, v215, v213, s55                           // 000000003698: D1ED00BA 00DFABD7
	v_perm_b32 v216, v201, v200, s52                           // 0000000036A0: D1ED00D8 00D391C9
	v_perm_b32 v217, v201, v200, s53                           // 0000000036A8: D1ED00D9 00D791C9
	v_perm_b32 v218, v203, v202, s52                           // 0000000036B0: D1ED00DA 00D395CB
	v_perm_b32 v219, v203, v202, s53                           // 0000000036B8: D1ED00DB 00D795CB
	v_perm_b32 v181, v218, v216, s54                           // 0000000036C0: D1ED00B5 00DBB1DA
	v_perm_b32 v183, v218, v216, s55                           // 0000000036C8: D1ED00B7 00DFB1DA
	v_perm_b32 v185, v219, v217, s54                           // 0000000036D0: D1ED00B9 00DBB3DB
	v_perm_b32 v187, v219, v217, s55                           // 0000000036D8: D1ED00BB 00DFB3DB
	s_waitcnt lgkmcnt(0)                                       // 0000000036E0: BF8CC07F
	ds_read_b32 v20, v2 offset:53760                           // 0000000036E4: D86CD200 14000002
	ds_read_b32 v21, v2 offset:53824                           // 0000000036EC: D86CD240 15000002
	ds_read_b32 v22, v2 offset:53888                           // 0000000036F4: D86CD280 16000002
	ds_read_b32 v23, v2 offset:53952                           // 0000000036FC: D86CD2C0 17000002
	v_perm_b32 v212, v205, v204, s52                           // 000000003704: D1ED00D4 00D399CD
	v_perm_b32 v213, v205, v204, s53                           // 00000000370C: D1ED00D5 00D799CD
	v_perm_b32 v214, v207, v206, s52                           // 000000003714: D1ED00D6 00D39DCF
	v_perm_b32 v215, v207, v206, s53                           // 00000000371C: D1ED00D7 00D79DCF
	v_perm_b32 v188, v214, v212, s54                           // 000000003724: D1ED00BC 00DBA9D6
	v_perm_b32 v190, v214, v212, s55                           // 00000000372C: D1ED00BE 00DFA9D6
	v_perm_b32 v192, v215, v213, s54                           // 000000003734: D1ED00C0 00DBABD7
	v_perm_b32 v194, v215, v213, s55                           // 00000000373C: D1ED00C2 00DFABD7
	v_perm_b32 v216, v209, v208, s52                           // 000000003744: D1ED00D8 00D3A1D1
	v_perm_b32 v217, v209, v208, s53                           // 00000000374C: D1ED00D9 00D7A1D1
	v_perm_b32 v218, v211, v210, s52                           // 000000003754: D1ED00DA 00D3A5D3
	v_perm_b32 v219, v211, v210, s53                           // 00000000375C: D1ED00DB 00D7A5D3
	v_perm_b32 v189, v218, v216, s54                           // 000000003764: D1ED00BD 00DBB1DA
	v_perm_b32 v191, v218, v216, s55                           // 00000000376C: D1ED00BF 00DFB1DA
	v_perm_b32 v193, v219, v217, s54                           // 000000003774: D1ED00C1 00DBB3DB
	v_perm_b32 v195, v219, v217, s55                           // 00000000377C: D1ED00C3 00DFB3DB
	s_waitcnt lgkmcnt(0)                                       // 000000003784: BF8CC07F
	v_max3_f32 v24, v20, v21, v24                              // 000000003788: D1D30018 04622B14
	v_max3_f32 v24, v22, v23, v24                              // 000000003790: D1D30018 04622F16
	v_mov_b32_e32 v25, 0xff7fffff                              // 000000003798: 7E3202FF FF7FFFFF
	v_cmp_eq_u32_e64 s[38:39], v25, v12                        // 0000000037A0: D0CA0026 00021919
	v_max_f32_e32 v20, v24, v12                                // 0000000037A8: 16281918
	v_sub_f32_e32 v16, v12, v20                                // 0000000037AC: 0420290C
	v_cndmask_b32_e64 v16, v16, 0, s[38:39]                    // 0000000037B0: D1000010 00990110
	v_mov_b32_e32 v12, v20                                     // 0000000037B8: 7E180314
	v_mul_f32_e32 v21, s5, v20                                 // 0000000037BC: 0A2A2805
	v_mul_f32_e32 v16, s5, v16                                 // 0000000037C0: 0A202005
	v_exp_f32_e32 v16, v16                                     // 0000000037C4: 7E204110
	v_fma_f32 v32, v32, s5, -v21                               // 0000000037C8: D1CB0020 84540B20
	v_fma_f32 v33, v33, s5, -v21                               // 0000000037D0: D1CB0021 84540B21
	v_fma_f32 v34, v34, s5, -v21                               // 0000000037D8: D1CB0022 84540B22
	v_fma_f32 v35, v35, s5, -v21                               // 0000000037E0: D1CB0023 84540B23
	v_fma_f32 v36, v36, s5, -v21                               // 0000000037E8: D1CB0024 84540B24
	v_fma_f32 v37, v37, s5, -v21                               // 0000000037F0: D1CB0025 84540B25
	v_fma_f32 v38, v38, s5, -v21                               // 0000000037F8: D1CB0026 84540B26
	v_fma_f32 v39, v39, s5, -v21                               // 000000003800: D1CB0027 84540B27
	v_exp_f32_e32 v32, v32                                     // 000000003808: 7E404120
	v_exp_f32_e32 v33, v33                                     // 00000000380C: 7E424121
	v_exp_f32_e32 v34, v34                                     // 000000003810: 7E444122
	v_exp_f32_e32 v35, v35                                     // 000000003814: 7E464123
	v_exp_f32_e32 v36, v36                                     // 000000003818: 7E484124
	v_exp_f32_e32 v37, v37                                     // 00000000381C: 7E4A4125
	v_exp_f32_e32 v38, v38                                     // 000000003820: 7E4C4126
	v_exp_f32_e32 v39, v39                                     // 000000003824: 7E4E4127
	v_cvt_pk_fp8_f32 v48, v32, v33                             // 000000003828: D2A20030 00024320
	v_cvt_pk_fp8_f32 v48, v34, v35 op_sel:[0,0,1]              // 000000003830: D2A24030 00024722
	v_cvt_pk_fp8_f32 v49, v36, v37                             // 000000003838: D2A20031 00024B24
	v_cvt_pk_fp8_f32 v49, v38, v39 op_sel:[0,0,1]              // 000000003840: D2A24031 00024F26
	s_add_u32 s83, s84, s83                                    // 000000003848: 80535354
	s_nop 0                                                    // 00000000384C: BF800000
	v_mov_b32_e32 v22, v16                                     // 000000003850: 7E2C0310
	v_mov_b32_e32 v23, v16                                     // 000000003854: 7E2E0310
	v_pk_mul_f32 v[52:53], v[22:23], v[52:53]                  // 000000003858: D3B14034 18026916
	v_pk_mul_f32 v[54:55], v[22:23], v[54:55]                  // 000000003860: D3B14036 18026D16
	v_pk_mul_f32 v[56:57], v[22:23], v[56:57]                  // 000000003868: D3B14038 18027116
	v_pk_mul_f32 v[58:59], v[22:23], v[58:59]                  // 000000003870: D3B1403A 18027516
	v_mfma_f32_16x16x32_fp8_fp8 v[52:55], a[108:109], v[48:49], v[52:55]// 000000003878: D3F30034 0CD2616C
	ds_write_b128 v6, v[180:183] offset:37376                  // 000000003880: D9BE9200 0000B406
	v_pk_mul_f32 v[60:61], v[22:23], v[60:61]                  // 000000003888: D3B1403C 18027916
	v_pk_mul_f32 v[62:63], v[22:23], v[62:63]                  // 000000003890: D3B1403E 18027D16
	v_pk_mul_f32 v[64:65], v[22:23], v[64:65]                  // 000000003898: D3B14040 18028116
	v_pk_mul_f32 v[66:67], v[22:23], v[66:67]                  // 0000000038A0: D3B14042 18028516
	v_mfma_f32_16x16x32_fp8_fp8 v[56:59], a[110:111], v[48:49], v[56:59]// 0000000038A8: D3F30038 0CE2616E
	v_mfma_f32_16x16x32_fp8_fp8 v[60:63], a[112:113], v[48:49], v[60:63]// 0000000038B0: D3F3003C 0CF26170
	ds_write_b128 v6, v[184:187] offset:38400                  // 0000000038B8: D9BE9600 0000B806
	v_pk_mul_f32 v[68:69], v[22:23], v[68:69]                  // 0000000038C0: D3B14044 18028916
	v_pk_mul_f32 v[70:71], v[22:23], v[70:71]                  // 0000000038C8: D3B14046 18028D16
	v_pk_mul_f32 v[72:73], v[22:23], v[72:73]                  // 0000000038D0: D3B14048 18029116
	v_pk_mul_f32 v[74:75], v[22:23], v[74:75]                  // 0000000038D8: D3B1404A 18029516
	v_mfma_f32_16x16x32_fp8_fp8 v[64:67], a[114:115], v[48:49], v[64:67]// 0000000038E0: D3F30040 0D026172
	v_mfma_f32_16x16x32_fp8_fp8 v[68:71], a[116:117], v[48:49], v[68:71]// 0000000038E8: D3F30044 0D126174
	ds_write_b128 v6, v[188:191] offset:45568                  // 0000000038F0: D9BEB200 0000BC06
	v_pk_mul_f32 v[76:77], v[22:23], v[76:77]                  // 0000000038F8: D3B1404C 18029916
	v_pk_mul_f32 v[78:79], v[22:23], v[78:79]                  // 000000003900: D3B1404E 18029D16
	v_pk_mul_f32 v[80:81], v[22:23], v[80:81]                  // 000000003908: D3B14050 1802A116
	v_pk_mul_f32 v[82:83], v[22:23], v[82:83]                  // 000000003910: D3B14052 1802A516
	v_mfma_f32_16x16x32_fp8_fp8 v[72:75], a[118:119], v[48:49], v[72:75]// 000000003918: D3F30048 0D226176
	v_mfma_f32_16x16x32_fp8_fp8 v[76:79], a[120:121], v[48:49], v[76:79]// 000000003920: D3F3004C 0D326178
	ds_write_b128 v6, v[192:195] offset:46592                  // 000000003928: D9BEB600 0000C006
	v_pk_mul_f32 v[84:85], v[22:23], v[84:85]                  // 000000003930: D3B14054 1802A916
	v_pk_mul_f32 v[86:87], v[22:23], v[86:87]                  // 000000003938: D3B14056 1802AD16
	v_pk_mul_f32 v[88:89], v[22:23], v[88:89]                  // 000000003940: D3B14058 1802B116
	v_pk_mul_f32 v[90:91], v[22:23], v[90:91]                  // 000000003948: D3B1405A 1802B516
	v_pk_mul_f32 v[92:93], v[22:23], v[92:93]                  // 000000003950: D3B1405C 1802B916
	v_pk_mul_f32 v[94:95], v[22:23], v[94:95]                  // 000000003958: D3B1405E 1802BD16
	v_pk_mul_f32 v[96:97], v[22:23], v[96:97]                  // 000000003960: D3B14060 1802C116
	v_pk_mul_f32 v[98:99], v[22:23], v[98:99]                  // 000000003968: D3B14062 1802C516
	v_pk_mul_f32 v[100:101], v[22:23], v[100:101]              // 000000003970: D3B14064 1802C916
	v_pk_mul_f32 v[102:103], v[22:23], v[102:103]              // 000000003978: D3B14066 1802CD16
	v_pk_mul_f32 v[104:105], v[22:23], v[104:105]              // 000000003980: D3B14068 1802D116
	v_pk_mul_f32 v[106:107], v[22:23], v[106:107]              // 000000003988: D3B1406A 1802D516
	v_pk_mul_f32 v[108:109], v[22:23], v[108:109]              // 000000003990: D3B1406C 1802D916
	v_pk_mul_f32 v[110:111], v[22:23], v[110:111]              // 000000003998: D3B1406E 1802DD16
	v_pk_mul_f32 v[112:113], v[22:23], v[112:113]              // 0000000039A0: D3B14070 1802E116
	v_pk_mul_f32 v[114:115], v[22:23], v[114:115]              // 0000000039A8: D3B14072 1802E516
	v_pk_mul_f32 v[116:117], v[22:23], v[116:117]              // 0000000039B0: D3B14074 1802E916
	v_pk_mul_f32 v[118:119], v[22:23], v[118:119]              // 0000000039B8: D3B14076 1802ED16
	v_pk_mul_f32 v[120:121], v[22:23], v[120:121]              // 0000000039C0: D3B14078 1802F116
	v_pk_mul_f32 v[122:123], v[22:23], v[122:123]              // 0000000039C8: D3B1407A 1802F516
	v_pk_mul_f32 v[124:125], v[22:23], v[124:125]              // 0000000039D0: D3B1407C 1802F916
	v_pk_mul_f32 v[126:127], v[22:23], v[126:127]              // 0000000039D8: D3B1407E 1802FD16
	v_pk_mul_f32 v[128:129], v[22:23], v[128:129]              // 0000000039E0: D3B14080 18030116
	v_pk_mul_f32 v[130:131], v[22:23], v[130:131]              // 0000000039E8: D3B14082 18030516
	v_mfma_f32_16x16x32_fp8_fp8 v[80:83], a[122:123], v[48:49], v[80:83]// 0000000039F0: D3F30050 0D42617A
	ds_read_b128 a[36:39], v4 offset:18688                     // 0000000039F8: DBFE4900 24000004
	ds_read_b128 a[40:43], v4 offset:18944                     // 000000003A00: DBFE4A00 28000004
	v_mfma_f32_16x16x32_fp8_fp8 v[84:87], a[124:125], v[48:49], v[84:87]// 000000003A08: D3F30054 0D52617C
	ds_read_b128 a[44:47], v4 offset:19200                     // 000000003A10: DBFE4B00 2C000004
	ds_read_b128 a[48:51], v4 offset:19456                     // 000000003A18: DBFE4C00 30000004
	v_pk_mul_f32 v[132:133], v[22:23], v[132:133]              // 000000003A20: D3B14084 18030916
	v_pk_mul_f32 v[134:135], v[22:23], v[134:135]              // 000000003A28: D3B14086 18030D16
	v_pk_mul_f32 v[136:137], v[22:23], v[136:137]              // 000000003A30: D3B14088 18031116
	v_pk_mul_f32 v[138:139], v[22:23], v[138:139]              // 000000003A38: D3B1408A 18031516
	v_pk_mul_f32 v[140:141], v[22:23], v[140:141]              // 000000003A40: D3B1408C 18031916
	v_pk_mul_f32 v[142:143], v[22:23], v[142:143]              // 000000003A48: D3B1408E 18031D16
	v_pk_mul_f32 v[144:145], v[22:23], v[144:145]              // 000000003A50: D3B14090 18032116
	v_pk_mul_f32 v[146:147], v[22:23], v[146:147]              // 000000003A58: D3B14092 18032516
	v_pk_mul_f32 v[148:149], v[22:23], v[148:149]              // 000000003A60: D3B14094 18032916
	v_pk_mul_f32 v[150:151], v[22:23], v[150:151]              // 000000003A68: D3B14096 18032D16
	v_pk_mul_f32 v[152:153], v[22:23], v[152:153]              // 000000003A70: D3B14098 18033116
	v_pk_mul_f32 v[154:155], v[22:23], v[154:155]              // 000000003A78: D3B1409A 18033516
	v_pk_mul_f32 v[156:157], v[22:23], v[156:157]              // 000000003A80: D3B1409C 18033916
	v_pk_mul_f32 v[158:159], v[22:23], v[158:159]              // 000000003A88: D3B1409E 18033D16
	v_pk_mul_f32 v[160:161], v[22:23], v[160:161]              // 000000003A90: D3B140A0 18034116
	v_pk_mul_f32 v[162:163], v[22:23], v[162:163]              // 000000003A98: D3B140A2 18034516
	v_pk_mul_f32 v[164:165], v[22:23], v[164:165]              // 000000003AA0: D3B140A4 18034916
	v_pk_mul_f32 v[166:167], v[22:23], v[166:167]              // 000000003AA8: D3B140A6 18034D16
	v_pk_mul_f32 v[168:169], v[22:23], v[168:169]              // 000000003AB0: D3B140A8 18035116
	v_pk_mul_f32 v[170:171], v[22:23], v[170:171]              // 000000003AB8: D3B140AA 18035516
	v_pk_mul_f32 v[172:173], v[22:23], v[172:173]              // 000000003AC0: D3B140AC 18035916
	v_pk_mul_f32 v[174:175], v[22:23], v[174:175]              // 000000003AC8: D3B140AE 18035D16
	v_pk_mul_f32 v[176:177], v[22:23], v[176:177]              // 000000003AD0: D3B140B0 18036116
	v_pk_mul_f32 v[178:179], v[22:23], v[178:179]              // 000000003AD8: D3B140B2 18036516
	v_mfma_f32_16x16x32_fp8_fp8 v[88:91], a[126:127], v[48:49], v[88:91]// 000000003AE0: D3F30058 0D62617E
	ds_read_b128 a[52:55], v4 offset:19712                     // 000000003AE8: DBFE4D00 34000004
	ds_read_b128 a[56:59], v4 offset:19968                     // 000000003AF0: DBFE4E00 38000004
	v_mfma_f32_16x16x32_fp8_fp8 v[92:95], a[128:129], v[48:49], v[92:95]// 000000003AF8: D3F3005C 0D726180
	ds_read_b128 a[60:63], v4 offset:20224                     // 000000003B00: DBFE4F00 3C000004
	ds_read_b128 a[64:67], v4 offset:20480                     // 000000003B08: DBFE5000 40000004
	v_mul_f32_e32 v14, v16, v14                                // 000000003B10: 0A1C1D10
	v_mov_b32_e32 v22, v32                                     // 000000003B14: 7E2C0320
	v_add_f32_e32 v22, v33, v22                                // 000000003B18: 022C2D21
	v_add_f32_e32 v22, v34, v22                                // 000000003B1C: 022C2D22
	v_add_f32_e32 v22, v35, v22                                // 000000003B20: 022C2D23
	v_add_f32_e32 v22, v36, v22                                // 000000003B24: 022C2D24
	v_add_f32_e32 v22, v37, v22                                // 000000003B28: 022C2D25
	v_add_f32_e32 v22, v38, v22                                // 000000003B2C: 022C2D26
	v_add_f32_e32 v22, v39, v22                                // 000000003B30: 022C2D27
	v_add_f32_e32 v14, v22, v14                                // 000000003B34: 021C1D16
	s_waitcnt vmcnt(0) lgkmcnt(8)                              // 000000003B38: BF8C0870
	s_barrier                                                  // 000000003B3C: BF8A0000
	v_mfma_f32_16x16x32_fp8_fp8 v[96:99], a[130:131], v[48:49], v[96:99]// 000000003B40: D3F30060 0D826182
	ds_read_b128 a[108:111], v7 offset:37376                   // 000000003B48: DBFE9200 6C000007
	v_mfma_f32_16x16x32_fp8_fp8 v[100:103], a[132:133], v[48:49], v[100:103]// 000000003B50: D3F30064 0D926184
	ds_read_b128 a[112:115], v7 offset:38400                   // 000000003B58: DBFE9600 70000007
	v_mfma_f32_16x16x32_fp8_fp8 v[104:107], a[134:135], v[48:49], v[104:107]// 000000003B60: D3F30068 0DA26186
	ds_read_b128 a[116:119], v7 offset:39424                   // 000000003B68: DBFE9A00 74000007
	v_mfma_f32_16x16x32_fp8_fp8 v[108:111], a[136:137], v[48:49], v[108:111]// 000000003B70: D3F3006C 0DB26188
	ds_read_b128 a[68:71], v4 offset:20736                     // 000000003B78: DBFE5100 44000004
	v_mfma_f32_16x16x32_fp8_fp8 v[112:115], a[138:139], v[48:49], v[112:115]// 000000003B80: D3F30070 0DC2618A
	ds_read_b128 a[72:75], v4 offset:28032                     // 000000003B88: DBFE6D80 48000004
	v_mfma_f32_16x16x32_fp8_fp8 v[116:119], a[140:141], v[48:49], v[116:119]// 000000003B90: D3F30074 0DD2618C
	v_mfma_f32_16x16x32_fp8_fp8 v[120:123], a[142:143], v[48:49], v[120:123]// 000000003B98: D3F30078 0DE2618E
	ds_read_b128 a[76:79], v4 offset:28288                     // 000000003BA0: DBFE6E80 4C000004
	v_mfma_f32_16x16x32_fp8_fp8 v[124:127], a[144:145], v[48:49], v[124:127]// 000000003BA8: D3F3007C 0DF26190
	v_mfma_f32_16x16x32_fp8_fp8 v[128:131], a[146:147], v[48:49], v[128:131]// 000000003BB0: D3F30080 0E026192
	ds_read_b128 a[80:83], v4 offset:28544                     // 000000003BB8: DBFE6F80 50000004
	v_mfma_f32_16x16x32_fp8_fp8 v[132:135], a[148:149], v[48:49], v[132:135]// 000000003BC0: D3F30084 0E126194
	v_mfma_f32_16x16x32_fp8_fp8 v[136:139], a[150:151], v[48:49], v[136:139]// 000000003BC8: D3F30088 0E226196
	ds_read_b128 a[84:87], v4 offset:28800                     // 000000003BD0: DBFE7080 54000004
	v_mfma_f32_16x16x32_fp8_fp8 v[140:143], a[152:153], v[48:49], v[140:143]// 000000003BD8: D3F3008C 0E326198
	v_mfma_f32_16x16x32_fp8_fp8 v[144:147], a[154:155], v[48:49], v[144:147]// 000000003BE0: D3F30090 0E42619A
	ds_read_b128 a[88:91], v4 offset:29056                     // 000000003BE8: DBFE7180 58000004
	v_mfma_f32_16x16x32_fp8_fp8 v[148:151], a[156:157], v[48:49], v[148:151]// 000000003BF0: D3F30094 0E52619C
	v_mfma_f32_16x16x32_fp8_fp8 v[152:155], a[158:159], v[48:49], v[152:155]// 000000003BF8: D3F30098 0E62619E
	ds_read_b128 a[92:95], v4 offset:29312                     // 000000003C00: DBFE7280 5C000004
	v_mfma_f32_16x16x32_fp8_fp8 v[156:159], a[160:161], v[48:49], v[156:159]// 000000003C08: D3F3009C 0E7261A0
	v_mfma_f32_16x16x32_fp8_fp8 v[160:163], a[162:163], v[48:49], v[160:163]// 000000003C10: D3F300A0 0E8261A2
	ds_read_b128 a[96:99], v4 offset:29568                     // 000000003C18: DBFE7380 60000004
	v_mfma_f32_16x16x32_fp8_fp8 v[164:167], a[164:165], v[48:49], v[164:167]// 000000003C20: D3F300A4 0E9261A4
	v_mfma_f32_16x16x32_fp8_fp8 v[168:171], a[166:167], v[48:49], v[168:171]// 000000003C28: D3F300A8 0EA261A6
	ds_read_b128 a[100:103], v4 offset:29824                   // 000000003C30: DBFE7480 64000004
	v_mfma_f32_16x16x32_fp8_fp8 v[172:175], a[168:169], v[48:49], v[172:175]// 000000003C38: D3F300AC 0EB261A8
	v_mfma_f32_16x16x32_fp8_fp8 v[176:179], a[170:171], v[48:49], v[176:179]// 000000003C40: D3F300B0 0EC261AA
	ds_read_b128 a[104:107], v4 offset:30080                   // 000000003C48: DBFE7580 68000004
	s_nop 0                                                    // 000000003C50: BF800000
	s_addk_i32 s70, 0x1                                        // 000000003C54: B7460001
	s_cmp_lt_i32 s70, s71                                      // 000000003C58: BF044746
	s_cbranch_scc0 label_08F7                                  // 000000003C5C: BF84029F
	s_waitcnt lgkmcnt(9)                                       // 000000003C60: BF8CC97F
	v_mul_u32_u24_dpp v18, v11, v31 row_newbcast:0 row_mask:0xf bank_mask:0xf// 000000003C64: 10243EFA FF01500B
	v_mul_u32_u24_dpp v19, v11, v31 row_newbcast:8 row_mask:0xf bank_mask:0xf// 000000003C6C: 10263EFA FF01580B
	v_add_u32_dpp v18, v9, v18 row_newbcast:0 row_mask:0xf bank_mask:0xf// 000000003C74: 682424FA FF015009
	v_add_u32_dpp v19, v9, v19 row_newbcast:8 row_mask:0xf bank_mask:0xf// 000000003C7C: 682626FA FF015809
	v_add_u32_e32 v18, v18, v1                                 // 000000003C84: 68240312
	v_add_u32_e32 v19, v19, v1                                 // 000000003C88: 68260313
	v_mfma_f32_16x16x32_fp8_fp8 v[32:35], a[36:37], a[0:1], 0  // 000000003C8C: D3F30020 1A020124
	s_mov_b32 m0, s36                                          // 000000003C94: BEFC0024
	buffer_load_dword v18, s[20:23], 0 offen lds               // 000000003C98: E0511000 80050012
	s_add_u32 m0, 0xc0, m0                                     // 000000003CA0: 807C7CFF 000000C0
	ds_read_b32 v196, v5                                       // 000000003CA8: D86C0000 C4000005
	v_mfma_f32_16x16x32_fp8_fp8 v[32:35], a[38:39], a[2:3], v[32:35]// 000000003CB0: D3F30020 1C820526
	buffer_load_dword v18, s[20:23], 0 offen offset:64 lds     // 000000003CB8: E0511040 80050012
	s_add_u32 m0, 0xc0, m0                                     // 000000003CC0: 807C7CFF 000000C0
	ds_read_b32 v197, v5 offset:2336                           // 000000003CC8: D86C0920 C5000005
	v_mfma_f32_16x16x32_fp8_fp8 v[32:35], a[40:41], a[4:5], v[32:35]// 000000003CD0: D3F30020 1C820928
	buffer_load_dword v18, s[20:23], 0 offen offset:128 lds    // 000000003CD8: E0511080 80050012
	s_add_u32 m0, 0xc0, m0                                     // 000000003CE0: 807C7CFF 000000C0
	ds_read_b32 v198, v5 offset:4672                           // 000000003CE8: D86C1240 C6000005
	v_mfma_f32_16x16x32_fp8_fp8 v[32:35], a[42:43], a[6:7], v[32:35]// 000000003CF0: D3F30020 1C820D2A
	buffer_load_dword v18, s[20:23], 0 offen offset:192 lds    // 000000003CF8: E05110C0 80050012
	s_add_u32 m0, 0xc0, m0                                     // 000000003D00: 807C7CFF 000000C0
	ds_read_b32 v199, v5 offset:7008                           // 000000003D08: D86C1B60 C7000005
	v_mfma_f32_16x16x32_fp8_fp8 v[32:35], a[44:45], a[8:9], v[32:35]// 000000003D10: D3F30020 1C82112C
	buffer_load_dword v18, s[20:23], 0 offen offset:256 lds    // 000000003D18: E0511100 80050012
	s_add_u32 m0, 0xc0, m0                                     // 000000003D20: 807C7CFF 000000C0
	ds_read_b32 v200, v5 offset:9344                           // 000000003D28: D86C2480 C8000005
	v_mfma_f32_16x16x32_fp8_fp8 v[32:35], a[46:47], a[10:11], v[32:35]// 000000003D30: D3F30020 1C82152E
	ds_read_b128 a[120:123], v7 offset:40448                   // 000000003D38: DBFE9E00 78000007
	v_mfma_f32_16x16x32_fp8_fp8 v[32:35], a[48:49], a[12:13], v[32:35]// 000000003D40: D3F30020 1C821930
	buffer_load_dword v18, s[20:23], 0 offen offset:320 lds    // 000000003D48: E0511140 80050012
	s_add_u32 m0, 0xc0, m0                                     // 000000003D50: 807C7CFF 000000C0
	ds_read_b32 v201, v5 offset:11680                          // 000000003D58: D86C2DA0 C9000005
	v_mfma_f32_16x16x32_fp8_fp8 v[32:35], a[50:51], a[14:15], v[32:35]// 000000003D60: D3F30020 1C821D32
	ds_read_b128 a[124:127], v7 offset:41472                   // 000000003D68: DBFEA200 7C000007
	v_mfma_f32_16x16x32_fp8_fp8 v[32:35], a[52:53], a[16:17], v[32:35]// 000000003D70: D3F30020 1C822134
	buffer_load_dword v18, s[20:23], 0 offen offset:384 lds    // 000000003D78: E0511180 80050012
	s_add_u32 m0, 0xc0, m0                                     // 000000003D80: 807C7CFF 000000C0
	ds_read_b32 v202, v5 offset:14016                          // 000000003D88: D86C36C0 CA000005
	v_mfma_f32_16x16x32_fp8_fp8 v[32:35], a[54:55], a[18:19], v[32:35]// 000000003D90: D3F30020 1C822536
	ds_read_b128 a[128:131], v7 offset:42496                   // 000000003D98: DBFEA600 80000007
	v_mfma_f32_16x16x32_fp8_fp8 v[32:35], a[56:57], a[20:21], v[32:35]// 000000003DA0: D3F30020 1C822938
	buffer_load_dword v18, s[20:23], 0 offen offset:448 lds    // 000000003DA8: E05111C0 80050012
	s_add_u32 m0, 0xc0, m0                                     // 000000003DB0: 807C7CFF 000000C0
	ds_read_b32 v203, v5 offset:16352                          // 000000003DB8: D86C3FE0 CB000005
	v_mfma_f32_16x16x32_fp8_fp8 v[32:35], a[58:59], a[22:23], v[32:35]// 000000003DC0: D3F30020 1C822D3A
	ds_read_b128 a[132:135], v7 offset:43520                   // 000000003DC8: DBFEAA00 84000007
	v_mfma_f32_16x16x32_fp8_fp8 v[32:35], a[60:61], a[24:25], v[32:35]// 000000003DD0: D3F30020 1C82313C
	buffer_load_dword v18, s[20:23], 0 offen offset:512 lds    // 000000003DD8: E0511200 80050012
	s_mov_b32 m0, s37                                          // 000000003DE0: BEFC0025
	ds_read_b32 v204, v5 offset:1024                           // 000000003DE4: D86C0400 CC000005
	v_mfma_f32_16x16x32_fp8_fp8 v[32:35], a[62:63], a[26:27], v[32:35]// 000000003DEC: D3F30020 1C82353E
	ds_read_b128 a[136:139], v7 offset:44544                   // 000000003DF4: DBFEAE00 88000007
	s_waitcnt lgkmcnt(14)                                      // 000000003DFC: BF8CCE7F
	v_mfma_f32_16x16x32_fp8_fp8 v[32:35], a[64:65], a[28:29], v[32:35]// 000000003E00: D3F30020 1C823940
	buffer_load_dword v19, s[20:23], 0 offen lds               // 000000003E08: E0511000 80050013
	s_add_u32 m0, 0xc0, m0                                     // 000000003E10: 807C7CFF 000000C0
	ds_read_b32 v205, v5 offset:3360                           // 000000003E18: D86C0D20 CD000005
	v_mfma_f32_16x16x32_fp8_fp8 v[32:35], a[66:67], a[30:31], v[32:35]// 000000003E20: D3F30020 1C823D42
	v_mfma_f32_16x16x32_fp8_fp8 v[32:35], a[68:69], a[32:33], v[32:35]// 000000003E28: D3F30020 1C824144
	buffer_load_dword v19, s[20:23], 0 offen offset:64 lds     // 000000003E30: E0511040 80050013
	s_add_u32 m0, 0xc0, m0                                     // 000000003E38: 807C7CFF 000000C0
	ds_read_b32 v206, v5 offset:5696                           // 000000003E40: D86C1640 CE000005
	v_mfma_f32_16x16x32_fp8_fp8 v[32:35], a[70:71], a[34:35], v[32:35]// 000000003E48: D3F30020 1C824546
	ds_read_b128 a[140:143], v7 offset:45568                   // 000000003E50: DBFEB200 8C000007
	v_mfma_f32_16x16x32_fp8_fp8 v[36:39], a[72:73], a[0:1], 0  // 000000003E58: D3F30024 1A020148
	buffer_load_dword v19, s[20:23], 0 offen offset:128 lds    // 000000003E60: E0511080 80050013
	s_add_u32 m0, 0xc0, m0                                     // 000000003E68: 807C7CFF 000000C0
	ds_read_b32 v207, v5 offset:8032                           // 000000003E70: D86C1F60 CF000005
	v_mfma_f32_16x16x32_fp8_fp8 v[36:39], a[74:75], a[2:3], v[36:39]// 000000003E78: D3F30024 1C92054A
	v_mfma_f32_16x16x32_fp8_fp8 v[36:39], a[76:77], a[4:5], v[36:39]// 000000003E80: D3F30024 1C92094C
	buffer_load_dword v19, s[20:23], 0 offen offset:192 lds    // 000000003E88: E05110C0 80050013
	s_add_u32 m0, 0xc0, m0                                     // 000000003E90: 807C7CFF 000000C0
	ds_read_b32 v208, v5 offset:10368                          // 000000003E98: D86C2880 D0000005
	v_mfma_f32_16x16x32_fp8_fp8 v[36:39], a[78:79], a[6:7], v[36:39]// 000000003EA0: D3F30024 1C920D4E
	ds_read_b128 a[144:147], v7 offset:46592                   // 000000003EA8: DBFEB600 90000007
	v_mfma_f32_16x16x32_fp8_fp8 v[36:39], a[80:81], a[8:9], v[36:39]// 000000003EB0: D3F30024 1C921150
	buffer_load_dword v19, s[20:23], 0 offen offset:256 lds    // 000000003EB8: E0511100 80050013
	s_add_u32 m0, 0xc0, m0                                     // 000000003EC0: 807C7CFF 000000C0
	ds_read_b32 v209, v5 offset:12704                          // 000000003EC8: D86C31A0 D1000005
	v_mfma_f32_16x16x32_fp8_fp8 v[36:39], a[82:83], a[10:11], v[36:39]// 000000003ED0: D3F30024 1C921552
	v_mfma_f32_16x16x32_fp8_fp8 v[36:39], a[84:85], a[12:13], v[36:39]// 000000003ED8: D3F30024 1C921954
	buffer_load_dword v19, s[20:23], 0 offen offset:320 lds    // 000000003EE0: E0511140 80050013
	s_add_u32 m0, 0xc0, m0                                     // 000000003EE8: 807C7CFF 000000C0
	ds_read_b32 v210, v5 offset:15040                          // 000000003EF0: D86C3AC0 D2000005
	v_mfma_f32_16x16x32_fp8_fp8 v[36:39], a[86:87], a[14:15], v[36:39]// 000000003EF8: D3F30024 1C921D56
	ds_read_b128 a[148:151], v7 offset:47616                   // 000000003F00: DBFEBA00 94000007
	v_mfma_f32_16x16x32_fp8_fp8 v[36:39], a[88:89], a[16:17], v[36:39]// 000000003F08: D3F30024 1C922158
	buffer_load_dword v19, s[20:23], 0 offen offset:384 lds    // 000000003F10: E0511180 80050013
	s_add_u32 m0, 0xc0, m0                                     // 000000003F18: 807C7CFF 000000C0
	ds_read_b32 v211, v5 offset:17376                          // 000000003F20: D86C43E0 D3000005
	v_mfma_f32_16x16x32_fp8_fp8 v[36:39], a[90:91], a[18:19], v[36:39]// 000000003F28: D3F30024 1C92255A
	ds_read_b128 a[152:155], v7 offset:48640                   // 000000003F30: DBFEBE00 98000007
	v_mfma_f32_16x16x32_fp8_fp8 v[36:39], a[92:93], a[20:21], v[36:39]// 000000003F38: D3F30024 1C92295C
	buffer_load_dword v19, s[20:23], 0 offen offset:448 lds    // 000000003F40: E05111C0 80050013
	s_add_u32 m0, 0xc0, m0                                     // 000000003F48: 807C7CFF 000000C0
	v_mfma_f32_16x16x32_fp8_fp8 v[36:39], a[94:95], a[22:23], v[36:39]// 000000003F50: D3F30024 1C922D5E
	ds_read_b128 a[156:159], v7 offset:49664                   // 000000003F58: DBFEC200 9C000007
	v_mfma_f32_16x16x32_fp8_fp8 v[36:39], a[96:97], a[24:25], v[36:39]// 000000003F60: D3F30024 1C923160
	buffer_load_dword v19, s[20:23], 0 offen offset:512 lds    // 000000003F68: E0511200 80050013
	s_add_u32 m0, 0xc0, m0                                     // 000000003F70: 807C7CFF 000000C0
	v_mfma_f32_16x16x32_fp8_fp8 v[36:39], a[98:99], a[26:27], v[36:39]// 000000003F78: D3F30024 1C923562
	ds_read_b128 a[160:163], v7 offset:50688                   // 000000003F80: DBFEC600 A0000007
	v_mfma_f32_16x16x32_fp8_fp8 v[36:39], a[100:101], a[28:29], v[36:39]// 000000003F88: D3F30024 1C923964
	v_mfma_f32_16x16x32_fp8_fp8 v[36:39], a[102:103], a[30:31], v[36:39]// 000000003F90: D3F30024 1C923D66
	ds_read_b128 a[164:167], v7 offset:51712                   // 000000003F98: DBFECA00 A4000007
	v_mfma_f32_16x16x32_fp8_fp8 v[36:39], a[104:105], a[32:33], v[36:39]// 000000003FA0: D3F30024 1C924168
	v_mfma_f32_16x16x32_fp8_fp8 v[36:39], a[106:107], a[34:35], v[36:39]// 000000003FA8: D3F30024 1C92456A
	ds_read_b128 a[168:171], v7 offset:52736                   // 000000003FB0: DBFECE00 A8000007
	buffer_load_dword v11, v8, s[24:27], 0 offen               // 000000003FB8: E0501000 80060B08
	v_add_u32_e32 v8, s73, v8                                  // 000000003FC0: 68101049
	s_cmp_le_i32 s83, s82                                      // 000000003FC4: BF055253
	s_cbranch_scc1 label_076B                                  // 000000003FC8: BF850038
	v_mov_b32_e32 v237, 0xff800000                             // 000000003FCC: 7FDA02FF FF800000
	s_add_u32 s57, s82, 0                                      // 000000003FD4: 80398052
	v_mov_b32_e32 v236, s57                                    // 000000003FD8: 7FD80239
	v_add_u32_e32 v236, s7, v236                               // 000000003FDC: 69D9D807
	s_sub_u32 s56, s83, 31                                     // 000000003FE0: 80B89F53
	v_lshrrev_b32_e32 v228, 4, v0                              // 000000003FE4: 21C80084
	v_mul_i32_i24_e32 v228, 8, v228                            // 000000003FE8: 0DC9C888
	v_add_u32_e32 v228, s56, v228                              // 000000003FEC: 69C9C838
	v_add_u32_e32 v229, 1, v228                                // 000000003FF0: 69CBC881
	v_add_u32_e32 v230, 2, v228                                // 000000003FF4: 69CDC882
	v_add_u32_e32 v231, 3, v228                                // 000000003FF8: 69CFC883
	v_add_u32_e32 v232, 4, v228                                // 000000003FFC: 69D1C884
	v_add_u32_e32 v233, 5, v228                                // 000000004000: 69D3C885
	v_add_u32_e32 v234, 6, v228                                // 000000004004: 69D5C886
	v_add_u32_e32 v235, 7, v228                                // 000000004008: 69D7C887
	v_cmp_le_u32_e64 s[38:39], v228, v236                      // 00000000400C: D0CB0026 0003D9E4
	s_nop 0                                                    // 000000004014: BF800000
	v_cndmask_b32_e64 v32, v237, v32, s[38:39]                 // 000000004018: D1000020 009A41ED
	v_cmp_le_u32_e64 s[38:39], v229, v236                      // 000000004020: D0CB0026 0003D9E5
	s_nop 0                                                    // 000000004028: BF800000
	v_cndmask_b32_e64 v33, v237, v33, s[38:39]                 // 00000000402C: D1000021 009A43ED
	v_cmp_le_u32_e64 s[38:39], v230, v236                      // 000000004034: D0CB0026 0003D9E6
	s_nop 0                                                    // 00000000403C: BF800000
	v_cndmask_b32_e64 v34, v237, v34, s[38:39]                 // 000000004040: D1000022 009A45ED
	v_cmp_le_u32_e64 s[38:39], v231, v236                      // 000000004048: D0CB0026 0003D9E7
	s_nop 0                                                    // 000000004050: BF800000
	v_cndmask_b32_e64 v35, v237, v35, s[38:39]                 // 000000004054: D1000023 009A47ED
	v_cmp_le_u32_e64 s[38:39], v232, v236                      // 00000000405C: D0CB0026 0003D9E8
	s_nop 0                                                    // 000000004064: BF800000
	v_cndmask_b32_e64 v36, v237, v36, s[38:39]                 // 000000004068: D1000024 009A49ED
	v_cmp_le_u32_e64 s[38:39], v233, v236                      // 000000004070: D0CB0026 0003D9E9
	s_nop 0                                                    // 000000004078: BF800000
	v_cndmask_b32_e64 v37, v237, v37, s[38:39]                 // 00000000407C: D1000025 009A4BED
	v_cmp_le_u32_e64 s[38:39], v234, v236                      // 000000004084: D0CB0026 0003D9EA
	s_nop 0                                                    // 00000000408C: BF800000
	v_cndmask_b32_e64 v38, v237, v38, s[38:39]                 // 000000004090: D1000026 009A4DED
	v_cmp_le_u32_e64 s[38:39], v235, v236                      // 000000004098: D0CB0026 0003D9EB
	s_nop 0                                                    // 0000000040A0: BF800000
	v_cndmask_b32_e64 v39, v237, v39, s[38:39]                 // 0000000040A4: D1000027 009A4FED

00000000000040ac <label_076B>:
	v_max3_f32 v24, v32, v33, v34                              // 0000000040AC: D1D30018 048A4320
	v_max3_f32 v24, v35, v36, v24                              // 0000000040B4: D1D30018 04624923
	v_max3_f32 v24, v37, v38, v24                              // 0000000040BC: D1D30018 04624D25
	v_max3_f32 v24, v38, v39, v24                              // 0000000040C4: D1D30018 04624F26
	s_waitcnt lgkmcnt(14)                                      // 0000000040CC: BF8CCE7F
	ds_write_b32 v3, v24 offset:53760                          // 0000000040D0: D81AD200 00001803
	v_perm_b32 v212, v197, v196, s52                           // 0000000040D8: D1ED00D4 00D389C5
	v_perm_b32 v213, v197, v196, s53                           // 0000000040E0: D1ED00D5 00D789C5
	v_perm_b32 v214, v199, v198, s52                           // 0000000040E8: D1ED00D6 00D38DC7
	v_perm_b32 v215, v199, v198, s53                           // 0000000040F0: D1ED00D7 00D78DC7
	v_perm_b32 v180, v214, v212, s54                           // 0000000040F8: D1ED00B4 00DBA9D6
	v_perm_b32 v182, v214, v212, s55                           // 000000004100: D1ED00B6 00DFA9D6
	v_perm_b32 v184, v215, v213, s54                           // 000000004108: D1ED00B8 00DBABD7
	v_perm_b32 v186, v215, v213, s55                           // 000000004110: D1ED00BA 00DFABD7
	v_perm_b32 v216, v201, v200, s52                           // 000000004118: D1ED00D8 00D391C9
	v_perm_b32 v217, v201, v200, s53                           // 000000004120: D1ED00D9 00D791C9
	v_perm_b32 v218, v203, v202, s52                           // 000000004128: D1ED00DA 00D395CB
	v_perm_b32 v219, v203, v202, s53                           // 000000004130: D1ED00DB 00D795CB
	v_perm_b32 v181, v218, v216, s54                           // 000000004138: D1ED00B5 00DBB1DA
	v_perm_b32 v183, v218, v216, s55                           // 000000004140: D1ED00B7 00DFB1DA
	v_perm_b32 v185, v219, v217, s54                           // 000000004148: D1ED00B9 00DBB3DB
	v_perm_b32 v187, v219, v217, s55                           // 000000004150: D1ED00BB 00DFB3DB
	s_waitcnt lgkmcnt(0)                                       // 000000004158: BF8CC07F
	ds_read_b32 v20, v2 offset:53760                           // 00000000415C: D86CD200 14000002
	ds_read_b32 v21, v2 offset:53824                           // 000000004164: D86CD240 15000002
	ds_read_b32 v22, v2 offset:53888                           // 00000000416C: D86CD280 16000002
	ds_read_b32 v23, v2 offset:53952                           // 000000004174: D86CD2C0 17000002
	v_perm_b32 v212, v205, v204, s52                           // 00000000417C: D1ED00D4 00D399CD
	v_perm_b32 v213, v205, v204, s53                           // 000000004184: D1ED00D5 00D799CD
	v_perm_b32 v214, v207, v206, s52                           // 00000000418C: D1ED00D6 00D39DCF
	v_perm_b32 v215, v207, v206, s53                           // 000000004194: D1ED00D7 00D79DCF
	v_perm_b32 v188, v214, v212, s54                           // 00000000419C: D1ED00BC 00DBA9D6
	v_perm_b32 v190, v214, v212, s55                           // 0000000041A4: D1ED00BE 00DFA9D6
	v_perm_b32 v192, v215, v213, s54                           // 0000000041AC: D1ED00C0 00DBABD7
	v_perm_b32 v194, v215, v213, s55                           // 0000000041B4: D1ED00C2 00DFABD7
	v_perm_b32 v216, v209, v208, s52                           // 0000000041BC: D1ED00D8 00D3A1D1
	v_perm_b32 v217, v209, v208, s53                           // 0000000041C4: D1ED00D9 00D7A1D1
	v_perm_b32 v218, v211, v210, s52                           // 0000000041CC: D1ED00DA 00D3A5D3
	v_perm_b32 v219, v211, v210, s53                           // 0000000041D4: D1ED00DB 00D7A5D3
	v_perm_b32 v189, v218, v216, s54                           // 0000000041DC: D1ED00BD 00DBB1DA
	v_perm_b32 v191, v218, v216, s55                           // 0000000041E4: D1ED00BF 00DFB1DA
	v_perm_b32 v193, v219, v217, s54                           // 0000000041EC: D1ED00C1 00DBB3DB
	v_perm_b32 v195, v219, v217, s55                           // 0000000041F4: D1ED00C3 00DFB3DB
	s_waitcnt lgkmcnt(0)                                       // 0000000041FC: BF8CC07F
	v_max3_f32 v24, v20, v21, v24                              // 000000004200: D1D30018 04622B14
	v_max3_f32 v24, v22, v23, v24                              // 000000004208: D1D30018 04622F16
	v_mov_b32_e32 v25, 0xff7fffff                              // 000000004210: 7E3202FF FF7FFFFF
	v_cmp_eq_u32_e64 s[38:39], v25, v12                        // 000000004218: D0CA0026 00021919
	v_max_f32_e32 v20, v24, v12                                // 000000004220: 16281918
	v_sub_f32_e32 v16, v12, v20                                // 000000004224: 0420290C
	v_cndmask_b32_e64 v16, v16, 0, s[38:39]                    // 000000004228: D1000010 00990110
	v_mov_b32_e32 v12, v20                                     // 000000004230: 7E180314
	v_mul_f32_e32 v21, s5, v20                                 // 000000004234: 0A2A2805
	v_mul_f32_e32 v16, s5, v16                                 // 000000004238: 0A202005
	v_exp_f32_e32 v16, v16                                     // 00000000423C: 7E204110
	v_fma_f32 v32, v32, s5, -v21                               // 000000004240: D1CB0020 84540B20
	v_fma_f32 v33, v33, s5, -v21                               // 000000004248: D1CB0021 84540B21
	v_fma_f32 v34, v34, s5, -v21                               // 000000004250: D1CB0022 84540B22
	v_fma_f32 v35, v35, s5, -v21                               // 000000004258: D1CB0023 84540B23
	v_fma_f32 v36, v36, s5, -v21                               // 000000004260: D1CB0024 84540B24
	v_fma_f32 v37, v37, s5, -v21                               // 000000004268: D1CB0025 84540B25
	v_fma_f32 v38, v38, s5, -v21                               // 000000004270: D1CB0026 84540B26
	v_fma_f32 v39, v39, s5, -v21                               // 000000004278: D1CB0027 84540B27
	v_exp_f32_e32 v32, v32                                     // 000000004280: 7E404120
	v_exp_f32_e32 v33, v33                                     // 000000004284: 7E424121
	v_exp_f32_e32 v34, v34                                     // 000000004288: 7E444122
	v_exp_f32_e32 v35, v35                                     // 00000000428C: 7E464123
	v_exp_f32_e32 v36, v36                                     // 000000004290: 7E484124
	v_exp_f32_e32 v37, v37                                     // 000000004294: 7E4A4125
	v_exp_f32_e32 v38, v38                                     // 000000004298: 7E4C4126
	v_exp_f32_e32 v39, v39                                     // 00000000429C: 7E4E4127
	v_cvt_pk_fp8_f32 v48, v32, v33                             // 0000000042A0: D2A20030 00024320
	v_cvt_pk_fp8_f32 v48, v34, v35 op_sel:[0,0,1]              // 0000000042A8: D2A24030 00024722
	v_cvt_pk_fp8_f32 v49, v36, v37                             // 0000000042B0: D2A20031 00024B24
	v_cvt_pk_fp8_f32 v49, v38, v39 op_sel:[0,0,1]              // 0000000042B8: D2A24031 00024F26
	s_add_u32 s83, s84, s83                                    // 0000000042C0: 80535354
	s_nop 0                                                    // 0000000042C4: BF800000
	v_mov_b32_e32 v22, v16                                     // 0000000042C8: 7E2C0310
	v_mov_b32_e32 v23, v16                                     // 0000000042CC: 7E2E0310
	v_pk_mul_f32 v[52:53], v[22:23], v[52:53]                  // 0000000042D0: D3B14034 18026916
	v_pk_mul_f32 v[54:55], v[22:23], v[54:55]                  // 0000000042D8: D3B14036 18026D16
	v_pk_mul_f32 v[56:57], v[22:23], v[56:57]                  // 0000000042E0: D3B14038 18027116
	v_pk_mul_f32 v[58:59], v[22:23], v[58:59]                  // 0000000042E8: D3B1403A 18027516
	v_mfma_f32_16x16x32_fp8_fp8 v[52:55], a[108:109], v[48:49], v[52:55]// 0000000042F0: D3F30034 0CD2616C
	ds_write_b128 v6, v[180:183] offset:37376                  // 0000000042F8: D9BE9200 0000B406
	v_pk_mul_f32 v[60:61], v[22:23], v[60:61]                  // 000000004300: D3B1403C 18027916
	v_pk_mul_f32 v[62:63], v[22:23], v[62:63]                  // 000000004308: D3B1403E 18027D16
	v_pk_mul_f32 v[64:65], v[22:23], v[64:65]                  // 000000004310: D3B14040 18028116
	v_pk_mul_f32 v[66:67], v[22:23], v[66:67]                  // 000000004318: D3B14042 18028516
	v_mfma_f32_16x16x32_fp8_fp8 v[56:59], a[110:111], v[48:49], v[56:59]// 000000004320: D3F30038 0CE2616E
	v_mfma_f32_16x16x32_fp8_fp8 v[60:63], a[112:113], v[48:49], v[60:63]// 000000004328: D3F3003C 0CF26170
	ds_write_b128 v6, v[184:187] offset:38400                  // 000000004330: D9BE9600 0000B806
	v_pk_mul_f32 v[68:69], v[22:23], v[68:69]                  // 000000004338: D3B14044 18028916
	v_pk_mul_f32 v[70:71], v[22:23], v[70:71]                  // 000000004340: D3B14046 18028D16
	v_pk_mul_f32 v[72:73], v[22:23], v[72:73]                  // 000000004348: D3B14048 18029116
	v_pk_mul_f32 v[74:75], v[22:23], v[74:75]                  // 000000004350: D3B1404A 18029516
	v_mfma_f32_16x16x32_fp8_fp8 v[64:67], a[114:115], v[48:49], v[64:67]// 000000004358: D3F30040 0D026172
	v_mfma_f32_16x16x32_fp8_fp8 v[68:71], a[116:117], v[48:49], v[68:71]// 000000004360: D3F30044 0D126174
	ds_write_b128 v6, v[188:191] offset:45568                  // 000000004368: D9BEB200 0000BC06
	v_pk_mul_f32 v[76:77], v[22:23], v[76:77]                  // 000000004370: D3B1404C 18029916
	v_pk_mul_f32 v[78:79], v[22:23], v[78:79]                  // 000000004378: D3B1404E 18029D16
	v_pk_mul_f32 v[80:81], v[22:23], v[80:81]                  // 000000004380: D3B14050 1802A116
	v_pk_mul_f32 v[82:83], v[22:23], v[82:83]                  // 000000004388: D3B14052 1802A516
	v_mfma_f32_16x16x32_fp8_fp8 v[72:75], a[118:119], v[48:49], v[72:75]// 000000004390: D3F30048 0D226176
	v_mfma_f32_16x16x32_fp8_fp8 v[76:79], a[120:121], v[48:49], v[76:79]// 000000004398: D3F3004C 0D326178
	ds_write_b128 v6, v[192:195] offset:46592                  // 0000000043A0: D9BEB600 0000C006
	v_pk_mul_f32 v[84:85], v[22:23], v[84:85]                  // 0000000043A8: D3B14054 1802A916
	v_pk_mul_f32 v[86:87], v[22:23], v[86:87]                  // 0000000043B0: D3B14056 1802AD16
	v_pk_mul_f32 v[88:89], v[22:23], v[88:89]                  // 0000000043B8: D3B14058 1802B116
	v_pk_mul_f32 v[90:91], v[22:23], v[90:91]                  // 0000000043C0: D3B1405A 1802B516
	v_pk_mul_f32 v[92:93], v[22:23], v[92:93]                  // 0000000043C8: D3B1405C 1802B916
	v_pk_mul_f32 v[94:95], v[22:23], v[94:95]                  // 0000000043D0: D3B1405E 1802BD16
	v_pk_mul_f32 v[96:97], v[22:23], v[96:97]                  // 0000000043D8: D3B14060 1802C116
	v_pk_mul_f32 v[98:99], v[22:23], v[98:99]                  // 0000000043E0: D3B14062 1802C516
	v_pk_mul_f32 v[100:101], v[22:23], v[100:101]              // 0000000043E8: D3B14064 1802C916
	v_pk_mul_f32 v[102:103], v[22:23], v[102:103]              // 0000000043F0: D3B14066 1802CD16
	v_pk_mul_f32 v[104:105], v[22:23], v[104:105]              // 0000000043F8: D3B14068 1802D116
	v_pk_mul_f32 v[106:107], v[22:23], v[106:107]              // 000000004400: D3B1406A 1802D516
	v_pk_mul_f32 v[108:109], v[22:23], v[108:109]              // 000000004408: D3B1406C 1802D916
	v_pk_mul_f32 v[110:111], v[22:23], v[110:111]              // 000000004410: D3B1406E 1802DD16
	v_pk_mul_f32 v[112:113], v[22:23], v[112:113]              // 000000004418: D3B14070 1802E116
	v_pk_mul_f32 v[114:115], v[22:23], v[114:115]              // 000000004420: D3B14072 1802E516
	v_pk_mul_f32 v[116:117], v[22:23], v[116:117]              // 000000004428: D3B14074 1802E916
	v_pk_mul_f32 v[118:119], v[22:23], v[118:119]              // 000000004430: D3B14076 1802ED16
	v_pk_mul_f32 v[120:121], v[22:23], v[120:121]              // 000000004438: D3B14078 1802F116
	v_pk_mul_f32 v[122:123], v[22:23], v[122:123]              // 000000004440: D3B1407A 1802F516
	v_pk_mul_f32 v[124:125], v[22:23], v[124:125]              // 000000004448: D3B1407C 1802F916
	v_pk_mul_f32 v[126:127], v[22:23], v[126:127]              // 000000004450: D3B1407E 1802FD16
	v_pk_mul_f32 v[128:129], v[22:23], v[128:129]              // 000000004458: D3B14080 18030116
	v_pk_mul_f32 v[130:131], v[22:23], v[130:131]              // 000000004460: D3B14082 18030516
	v_mfma_f32_16x16x32_fp8_fp8 v[80:83], a[122:123], v[48:49], v[80:83]// 000000004468: D3F30050 0D42617A
	ds_read_b128 a[36:39], v4                                  // 000000004470: DBFE0000 24000004
	ds_read_b128 a[40:43], v4 offset:256                       // 000000004478: DBFE0100 28000004
	v_mfma_f32_16x16x32_fp8_fp8 v[84:87], a[124:125], v[48:49], v[84:87]// 000000004480: D3F30054 0D52617C
	ds_read_b128 a[44:47], v4 offset:512                       // 000000004488: DBFE0200 2C000004
	ds_read_b128 a[48:51], v4 offset:768                       // 000000004490: DBFE0300 30000004
	v_pk_mul_f32 v[132:133], v[22:23], v[132:133]              // 000000004498: D3B14084 18030916
	v_pk_mul_f32 v[134:135], v[22:23], v[134:135]              // 0000000044A0: D3B14086 18030D16
	v_pk_mul_f32 v[136:137], v[22:23], v[136:137]              // 0000000044A8: D3B14088 18031116
	v_pk_mul_f32 v[138:139], v[22:23], v[138:139]              // 0000000044B0: D3B1408A 18031516
	v_pk_mul_f32 v[140:141], v[22:23], v[140:141]              // 0000000044B8: D3B1408C 18031916
	v_pk_mul_f32 v[142:143], v[22:23], v[142:143]              // 0000000044C0: D3B1408E 18031D16
	v_pk_mul_f32 v[144:145], v[22:23], v[144:145]              // 0000000044C8: D3B14090 18032116
	v_pk_mul_f32 v[146:147], v[22:23], v[146:147]              // 0000000044D0: D3B14092 18032516
	v_pk_mul_f32 v[148:149], v[22:23], v[148:149]              // 0000000044D8: D3B14094 18032916
	v_pk_mul_f32 v[150:151], v[22:23], v[150:151]              // 0000000044E0: D3B14096 18032D16
	v_pk_mul_f32 v[152:153], v[22:23], v[152:153]              // 0000000044E8: D3B14098 18033116
	v_pk_mul_f32 v[154:155], v[22:23], v[154:155]              // 0000000044F0: D3B1409A 18033516
	v_pk_mul_f32 v[156:157], v[22:23], v[156:157]              // 0000000044F8: D3B1409C 18033916
	v_pk_mul_f32 v[158:159], v[22:23], v[158:159]              // 000000004500: D3B1409E 18033D16
	v_pk_mul_f32 v[160:161], v[22:23], v[160:161]              // 000000004508: D3B140A0 18034116
	v_pk_mul_f32 v[162:163], v[22:23], v[162:163]              // 000000004510: D3B140A2 18034516
	v_pk_mul_f32 v[164:165], v[22:23], v[164:165]              // 000000004518: D3B140A4 18034916
	v_pk_mul_f32 v[166:167], v[22:23], v[166:167]              // 000000004520: D3B140A6 18034D16
	v_pk_mul_f32 v[168:169], v[22:23], v[168:169]              // 000000004528: D3B140A8 18035116
	v_pk_mul_f32 v[170:171], v[22:23], v[170:171]              // 000000004530: D3B140AA 18035516
	v_pk_mul_f32 v[172:173], v[22:23], v[172:173]              // 000000004538: D3B140AC 18035916
	v_pk_mul_f32 v[174:175], v[22:23], v[174:175]              // 000000004540: D3B140AE 18035D16
	v_pk_mul_f32 v[176:177], v[22:23], v[176:177]              // 000000004548: D3B140B0 18036116
	v_pk_mul_f32 v[178:179], v[22:23], v[178:179]              // 000000004550: D3B140B2 18036516
	v_mfma_f32_16x16x32_fp8_fp8 v[88:91], a[126:127], v[48:49], v[88:91]// 000000004558: D3F30058 0D62617E
	ds_read_b128 a[52:55], v4 offset:1024                      // 000000004560: DBFE0400 34000004
	ds_read_b128 a[56:59], v4 offset:1280                      // 000000004568: DBFE0500 38000004
	v_mfma_f32_16x16x32_fp8_fp8 v[92:95], a[128:129], v[48:49], v[92:95]// 000000004570: D3F3005C 0D726180
	ds_read_b128 a[60:63], v4 offset:1536                      // 000000004578: DBFE0600 3C000004
	ds_read_b128 a[64:67], v4 offset:1792                      // 000000004580: DBFE0700 40000004
	v_mul_f32_e32 v14, v16, v14                                // 000000004588: 0A1C1D10
	v_mov_b32_e32 v22, v32                                     // 00000000458C: 7E2C0320
	v_add_f32_e32 v22, v33, v22                                // 000000004590: 022C2D21
	v_add_f32_e32 v22, v34, v22                                // 000000004594: 022C2D22
	v_add_f32_e32 v22, v35, v22                                // 000000004598: 022C2D23
	v_add_f32_e32 v22, v36, v22                                // 00000000459C: 022C2D24
	v_add_f32_e32 v22, v37, v22                                // 0000000045A0: 022C2D25
	v_add_f32_e32 v22, v38, v22                                // 0000000045A4: 022C2D26
	v_add_f32_e32 v22, v39, v22                                // 0000000045A8: 022C2D27
	v_add_f32_e32 v14, v22, v14                                // 0000000045AC: 021C1D16
	s_waitcnt vmcnt(0) lgkmcnt(8)                              // 0000000045B0: BF8C0870
	s_barrier                                                  // 0000000045B4: BF8A0000
	v_mfma_f32_16x16x32_fp8_fp8 v[96:99], a[130:131], v[48:49], v[96:99]// 0000000045B8: D3F30060 0D826182
	ds_read_b128 a[108:111], v7 offset:37376                   // 0000000045C0: DBFE9200 6C000007
	v_mfma_f32_16x16x32_fp8_fp8 v[100:103], a[132:133], v[48:49], v[100:103]// 0000000045C8: D3F30064 0D926184
	ds_read_b128 a[112:115], v7 offset:38400                   // 0000000045D0: DBFE9600 70000007
	v_mfma_f32_16x16x32_fp8_fp8 v[104:107], a[134:135], v[48:49], v[104:107]// 0000000045D8: D3F30068 0DA26186
	ds_read_b128 a[116:119], v7 offset:39424                   // 0000000045E0: DBFE9A00 74000007
	v_mfma_f32_16x16x32_fp8_fp8 v[108:111], a[136:137], v[48:49], v[108:111]// 0000000045E8: D3F3006C 0DB26188
	ds_read_b128 a[68:71], v4 offset:2048                      // 0000000045F0: DBFE0800 44000004
	v_mfma_f32_16x16x32_fp8_fp8 v[112:115], a[138:139], v[48:49], v[112:115]// 0000000045F8: D3F30070 0DC2618A
	ds_read_b128 a[72:75], v4 offset:9344                      // 000000004600: DBFE2480 48000004
	v_mfma_f32_16x16x32_fp8_fp8 v[116:119], a[140:141], v[48:49], v[116:119]// 000000004608: D3F30074 0DD2618C
	v_mfma_f32_16x16x32_fp8_fp8 v[120:123], a[142:143], v[48:49], v[120:123]// 000000004610: D3F30078 0DE2618E
	ds_read_b128 a[76:79], v4 offset:9600                      // 000000004618: DBFE2580 4C000004
	v_mfma_f32_16x16x32_fp8_fp8 v[124:127], a[144:145], v[48:49], v[124:127]// 000000004620: D3F3007C 0DF26190
	v_mfma_f32_16x16x32_fp8_fp8 v[128:131], a[146:147], v[48:49], v[128:131]// 000000004628: D3F30080 0E026192
	ds_read_b128 a[80:83], v4 offset:9856                      // 000000004630: DBFE2680 50000004
	v_mfma_f32_16x16x32_fp8_fp8 v[132:135], a[148:149], v[48:49], v[132:135]// 000000004638: D3F30084 0E126194
	v_mfma_f32_16x16x32_fp8_fp8 v[136:139], a[150:151], v[48:49], v[136:139]// 000000004640: D3F30088 0E226196
	ds_read_b128 a[84:87], v4 offset:10112                     // 000000004648: DBFE2780 54000004
	v_mfma_f32_16x16x32_fp8_fp8 v[140:143], a[152:153], v[48:49], v[140:143]// 000000004650: D3F3008C 0E326198
	v_mfma_f32_16x16x32_fp8_fp8 v[144:147], a[154:155], v[48:49], v[144:147]// 000000004658: D3F30090 0E42619A
	ds_read_b128 a[88:91], v4 offset:10368                     // 000000004660: DBFE2880 58000004
	v_mfma_f32_16x16x32_fp8_fp8 v[148:151], a[156:157], v[48:49], v[148:151]// 000000004668: D3F30094 0E52619C
	v_mfma_f32_16x16x32_fp8_fp8 v[152:155], a[158:159], v[48:49], v[152:155]// 000000004670: D3F30098 0E62619E
	ds_read_b128 a[92:95], v4 offset:10624                     // 000000004678: DBFE2980 5C000004
	v_mfma_f32_16x16x32_fp8_fp8 v[156:159], a[160:161], v[48:49], v[156:159]// 000000004680: D3F3009C 0E7261A0
	v_mfma_f32_16x16x32_fp8_fp8 v[160:163], a[162:163], v[48:49], v[160:163]// 000000004688: D3F300A0 0E8261A2
	ds_read_b128 a[96:99], v4 offset:10880                     // 000000004690: DBFE2A80 60000004
	v_mfma_f32_16x16x32_fp8_fp8 v[164:167], a[164:165], v[48:49], v[164:167]// 000000004698: D3F300A4 0E9261A4
	v_mfma_f32_16x16x32_fp8_fp8 v[168:171], a[166:167], v[48:49], v[168:171]// 0000000046A0: D3F300A8 0EA261A6
	ds_read_b128 a[100:103], v4 offset:11136                   // 0000000046A8: DBFE2B80 64000004
	v_mfma_f32_16x16x32_fp8_fp8 v[172:175], a[168:169], v[48:49], v[172:175]// 0000000046B0: D3F300AC 0EB261A8
	v_mfma_f32_16x16x32_fp8_fp8 v[176:179], a[170:171], v[48:49], v[176:179]// 0000000046B8: D3F300B0 0EC261AA
	ds_read_b128 a[104:107], v4 offset:11392                   // 0000000046C0: DBFE2C80 68000004
	s_nop 0                                                    // 0000000046C8: BF800000
	s_addk_i32 s70, 0x1                                        // 0000000046CC: B7460001
	s_cmp_lt_i32 s70, s71                                      // 0000000046D0: BF044746
	s_cbranch_scc0 label_08F7                                  // 0000000046D4: BF840001
	s_branch label_03BA                                        // 0000000046D8: BF82FAC3

00000000000046dc <label_08F7>:
	s_nop 0                                                    // 0000000046DC: BF800000
	s_nop 0                                                    // 0000000046E0: BF800000
	s_branch label_08FA                                        // 0000000046E4: BF820000

00000000000046e8 <label_08FA>:
	s_cmp_eq_i32 s48, 0                                        // 0000000046E8: BF008030
	s_cbranch_scc1 label_0DDD                                  // 0000000046EC: BF8504E1

00000000000046f0 <label_08FC>:
	s_and_b32 s56, s71, 1                                      // 0000000046F0: 86388147
	s_cmp_eq_i32 s56, 1                                        // 0000000046F4: BF008138
	s_cbranch_scc1 label_0B6E                                  // 0000000046F8: BF85026F
	s_waitcnt lgkmcnt(9)                                       // 0000000046FC: BF8CC97F
	v_mfma_f32_16x16x32_fp8_fp8 v[32:35], a[36:37], a[0:1], 0  // 000000004700: D3F30020 1A020124
	v_mfma_f32_16x16x32_fp8_fp8 v[32:35], a[38:39], a[2:3], v[32:35]// 000000004708: D3F30020 1C820526
	v_mfma_f32_16x16x32_fp8_fp8 v[32:35], a[40:41], a[4:5], v[32:35]// 000000004710: D3F30020 1C820928
	v_mfma_f32_16x16x32_fp8_fp8 v[32:35], a[42:43], a[6:7], v[32:35]// 000000004718: D3F30020 1C820D2A
	v_mfma_f32_16x16x32_fp8_fp8 v[32:35], a[44:45], a[8:9], v[32:35]// 000000004720: D3F30020 1C82112C
	v_mfma_f32_16x16x32_fp8_fp8 v[32:35], a[46:47], a[10:11], v[32:35]// 000000004728: D3F30020 1C82152E
	ds_read_b128 a[120:123], v7 offset:40448                   // 000000004730: DBFE9E00 78000007
	v_mfma_f32_16x16x32_fp8_fp8 v[32:35], a[48:49], a[12:13], v[32:35]// 000000004738: D3F30020 1C821930
	v_mfma_f32_16x16x32_fp8_fp8 v[32:35], a[50:51], a[14:15], v[32:35]// 000000004740: D3F30020 1C821D32
	ds_read_b128 a[124:127], v7 offset:41472                   // 000000004748: DBFEA200 7C000007
	v_mfma_f32_16x16x32_fp8_fp8 v[32:35], a[52:53], a[16:17], v[32:35]// 000000004750: D3F30020 1C822134
	v_mfma_f32_16x16x32_fp8_fp8 v[32:35], a[54:55], a[18:19], v[32:35]// 000000004758: D3F30020 1C822536
	ds_read_b128 a[128:131], v7 offset:42496                   // 000000004760: DBFEA600 80000007
	v_mfma_f32_16x16x32_fp8_fp8 v[32:35], a[56:57], a[20:21], v[32:35]// 000000004768: D3F30020 1C822938
	v_mfma_f32_16x16x32_fp8_fp8 v[32:35], a[58:59], a[22:23], v[32:35]// 000000004770: D3F30020 1C822D3A
	ds_read_b128 a[132:135], v7 offset:43520                   // 000000004778: DBFEAA00 84000007
	v_mfma_f32_16x16x32_fp8_fp8 v[32:35], a[60:61], a[24:25], v[32:35]// 000000004780: D3F30020 1C82313C
	v_mfma_f32_16x16x32_fp8_fp8 v[32:35], a[62:63], a[26:27], v[32:35]// 000000004788: D3F30020 1C82353E
	ds_read_b128 a[136:139], v7 offset:44544                   // 000000004790: DBFEAE00 88000007
	v_mfma_f32_16x16x32_fp8_fp8 v[32:35], a[64:65], a[28:29], v[32:35]// 000000004798: D3F30020 1C823940
	v_mfma_f32_16x16x32_fp8_fp8 v[32:35], a[66:67], a[30:31], v[32:35]// 0000000047A0: D3F30020 1C823D42
	v_mfma_f32_16x16x32_fp8_fp8 v[32:35], a[68:69], a[32:33], v[32:35]// 0000000047A8: D3F30020 1C824144
	v_mfma_f32_16x16x32_fp8_fp8 v[32:35], a[70:71], a[34:35], v[32:35]// 0000000047B0: D3F30020 1C824546
	ds_read_b128 a[140:143], v7 offset:45568                   // 0000000047B8: DBFEB200 8C000007
	v_mfma_f32_16x16x32_fp8_fp8 v[36:39], a[72:73], a[0:1], 0  // 0000000047C0: D3F30024 1A020148
	v_mfma_f32_16x16x32_fp8_fp8 v[36:39], a[74:75], a[2:3], v[36:39]// 0000000047C8: D3F30024 1C92054A
	v_mfma_f32_16x16x32_fp8_fp8 v[36:39], a[76:77], a[4:5], v[36:39]// 0000000047D0: D3F30024 1C92094C
	v_mfma_f32_16x16x32_fp8_fp8 v[36:39], a[78:79], a[6:7], v[36:39]// 0000000047D8: D3F30024 1C920D4E
	ds_read_b128 a[144:147], v7 offset:46592                   // 0000000047E0: DBFEB600 90000007
	v_mfma_f32_16x16x32_fp8_fp8 v[36:39], a[80:81], a[8:9], v[36:39]// 0000000047E8: D3F30024 1C921150
	v_mfma_f32_16x16x32_fp8_fp8 v[36:39], a[82:83], a[10:11], v[36:39]// 0000000047F0: D3F30024 1C921552
	v_mfma_f32_16x16x32_fp8_fp8 v[36:39], a[84:85], a[12:13], v[36:39]// 0000000047F8: D3F30024 1C921954
	v_mfma_f32_16x16x32_fp8_fp8 v[36:39], a[86:87], a[14:15], v[36:39]// 000000004800: D3F30024 1C921D56
	ds_read_b128 a[148:151], v7 offset:47616                   // 000000004808: DBFEBA00 94000007
	v_mfma_f32_16x16x32_fp8_fp8 v[36:39], a[88:89], a[16:17], v[36:39]// 000000004810: D3F30024 1C922158
	v_mfma_f32_16x16x32_fp8_fp8 v[36:39], a[90:91], a[18:19], v[36:39]// 000000004818: D3F30024 1C92255A
	ds_read_b128 a[152:155], v7 offset:48640                   // 000000004820: DBFEBE00 98000007
	v_mfma_f32_16x16x32_fp8_fp8 v[36:39], a[92:93], a[20:21], v[36:39]// 000000004828: D3F30024 1C92295C
	v_mfma_f32_16x16x32_fp8_fp8 v[36:39], a[94:95], a[22:23], v[36:39]// 000000004830: D3F30024 1C922D5E
	ds_read_b128 a[156:159], v7 offset:49664                   // 000000004838: DBFEC200 9C000007
	v_mfma_f32_16x16x32_fp8_fp8 v[36:39], a[96:97], a[24:25], v[36:39]// 000000004840: D3F30024 1C923160
	v_mfma_f32_16x16x32_fp8_fp8 v[36:39], a[98:99], a[26:27], v[36:39]// 000000004848: D3F30024 1C923562
	ds_read_b128 a[160:163], v7 offset:50688                   // 000000004850: DBFEC600 A0000007
	v_mfma_f32_16x16x32_fp8_fp8 v[36:39], a[100:101], a[28:29], v[36:39]// 000000004858: D3F30024 1C923964
	v_mfma_f32_16x16x32_fp8_fp8 v[36:39], a[102:103], a[30:31], v[36:39]// 000000004860: D3F30024 1C923D66
	ds_read_b128 a[164:167], v7 offset:51712                   // 000000004868: DBFECA00 A4000007
	v_mfma_f32_16x16x32_fp8_fp8 v[36:39], a[104:105], a[32:33], v[36:39]// 000000004870: D3F30024 1C924168
	v_mfma_f32_16x16x32_fp8_fp8 v[36:39], a[106:107], a[34:35], v[36:39]// 000000004878: D3F30024 1C92456A
	ds_read_b128 a[168:171], v7 offset:52736                   // 000000004880: DBFECE00 A8000007
	s_nop 4                                                    // 000000004888: BF800004
	s_cmp_le_i32 s83, s82                                      // 00000000488C: BF055253
	s_cbranch_scc1 label_099D                                  // 000000004890: BF850038
	v_mov_b32_e32 v237, 0xff800000                             // 000000004894: 7FDA02FF FF800000
	s_add_u32 s57, s82, 0                                      // 00000000489C: 80398052
	v_mov_b32_e32 v236, s57                                    // 0000000048A0: 7FD80239
	v_add_u32_e32 v236, s7, v236                               // 0000000048A4: 69D9D807
	s_sub_u32 s56, s83, 31                                     // 0000000048A8: 80B89F53
	v_lshrrev_b32_e32 v228, 4, v0                              // 0000000048AC: 21C80084
	v_mul_i32_i24_e32 v228, 8, v228                            // 0000000048B0: 0DC9C888
	v_add_u32_e32 v228, s56, v228                              // 0000000048B4: 69C9C838
	v_add_u32_e32 v229, 1, v228                                // 0000000048B8: 69CBC881
	v_add_u32_e32 v230, 2, v228                                // 0000000048BC: 69CDC882
	v_add_u32_e32 v231, 3, v228                                // 0000000048C0: 69CFC883
	v_add_u32_e32 v232, 4, v228                                // 0000000048C4: 69D1C884
	v_add_u32_e32 v233, 5, v228                                // 0000000048C8: 69D3C885
	v_add_u32_e32 v234, 6, v228                                // 0000000048CC: 69D5C886
	v_add_u32_e32 v235, 7, v228                                // 0000000048D0: 69D7C887
	v_cmp_le_u32_e64 s[38:39], v228, v236                      // 0000000048D4: D0CB0026 0003D9E4
	s_nop 0                                                    // 0000000048DC: BF800000
	v_cndmask_b32_e64 v32, v237, v32, s[38:39]                 // 0000000048E0: D1000020 009A41ED
	v_cmp_le_u32_e64 s[38:39], v229, v236                      // 0000000048E8: D0CB0026 0003D9E5
	s_nop 0                                                    // 0000000048F0: BF800000
	v_cndmask_b32_e64 v33, v237, v33, s[38:39]                 // 0000000048F4: D1000021 009A43ED
	v_cmp_le_u32_e64 s[38:39], v230, v236                      // 0000000048FC: D0CB0026 0003D9E6
	s_nop 0                                                    // 000000004904: BF800000
	v_cndmask_b32_e64 v34, v237, v34, s[38:39]                 // 000000004908: D1000022 009A45ED
	v_cmp_le_u32_e64 s[38:39], v231, v236                      // 000000004910: D0CB0026 0003D9E7
	s_nop 0                                                    // 000000004918: BF800000
	v_cndmask_b32_e64 v35, v237, v35, s[38:39]                 // 00000000491C: D1000023 009A47ED
	v_cmp_le_u32_e64 s[38:39], v232, v236                      // 000000004924: D0CB0026 0003D9E8
	s_nop 0                                                    // 00000000492C: BF800000
	v_cndmask_b32_e64 v36, v237, v36, s[38:39]                 // 000000004930: D1000024 009A49ED
	v_cmp_le_u32_e64 s[38:39], v233, v236                      // 000000004938: D0CB0026 0003D9E9
	s_nop 0                                                    // 000000004940: BF800000
	v_cndmask_b32_e64 v37, v237, v37, s[38:39]                 // 000000004944: D1000025 009A4BED
	v_cmp_le_u32_e64 s[38:39], v234, v236                      // 00000000494C: D0CB0026 0003D9EA
	s_nop 0                                                    // 000000004954: BF800000
	v_cndmask_b32_e64 v38, v237, v38, s[38:39]                 // 000000004958: D1000026 009A4DED
	v_cmp_le_u32_e64 s[38:39], v235, v236                      // 000000004960: D0CB0026 0003D9EB
	s_nop 0                                                    // 000000004968: BF800000
	v_cndmask_b32_e64 v39, v237, v39, s[38:39]                 // 00000000496C: D1000027 009A4FED

0000000000004974 <label_099D>:
	v_mov_b32_e32 v237, 0xff800000                             // 000000004974: 7FDA02FF FF800000
	s_and_b32 s56, s48, 0xff                                   // 00000000497C: 8638FF30 000000FF
	v_mov_b32_e32 v236, s56                                    // 000000004984: 7FD80238
	v_lshrrev_b32_e32 v228, 4, v0                              // 000000004988: 21C80084
	v_mul_i32_i24_e32 v228, 8, v228                            // 00000000498C: 0DC9C888
	v_add_u32_e32 v229, 1, v228                                // 000000004990: 69CBC881
	v_add_u32_e32 v230, 2, v228                                // 000000004994: 69CDC882
	v_add_u32_e32 v231, 3, v228                                // 000000004998: 69CFC883
	v_add_u32_e32 v232, 4, v228                                // 00000000499C: 69D1C884
	v_add_u32_e32 v233, 5, v228                                // 0000000049A0: 69D3C885
	v_add_u32_e32 v234, 6, v228                                // 0000000049A4: 69D5C886
	v_add_u32_e32 v235, 7, v228                                // 0000000049A8: 69D7C887
	v_cmp_lt_u32_e64 s[38:39], v228, v236                      // 0000000049AC: D0C90026 0003D9E4
	v_add_u32_e32 v228, 64, v228                               // 0000000049B4: 69C9C8C0
	s_nop 0                                                    // 0000000049B8: BF800000
	v_cndmask_b32_e64 v32, v237, v32, s[38:39]                 // 0000000049BC: D1000020 009A41ED
	v_cmp_lt_u32_e64 s[38:39], v229, v236                      // 0000000049C4: D0C90026 0003D9E5
	v_add_u32_e32 v229, 64, v229                               // 0000000049CC: 69CBCAC0
	s_nop 0                                                    // 0000000049D0: BF800000
	v_cndmask_b32_e64 v33, v237, v33, s[38:39]                 // 0000000049D4: D1000021 009A43ED
	v_cmp_lt_u32_e64 s[38:39], v230, v236                      // 0000000049DC: D0C90026 0003D9E6
	v_add_u32_e32 v230, 64, v230                               // 0000000049E4: 69CDCCC0
	s_nop 0                                                    // 0000000049E8: BF800000
	v_cndmask_b32_e64 v34, v237, v34, s[38:39]                 // 0000000049EC: D1000022 009A45ED
	v_cmp_lt_u32_e64 s[38:39], v231, v236                      // 0000000049F4: D0C90026 0003D9E7
	v_add_u32_e32 v231, 64, v231                               // 0000000049FC: 69CFCEC0
	s_nop 0                                                    // 000000004A00: BF800000
	v_cndmask_b32_e64 v35, v237, v35, s[38:39]                 // 000000004A04: D1000023 009A47ED
	v_cmp_lt_u32_e64 s[38:39], v232, v236                      // 000000004A0C: D0C90026 0003D9E8
	v_add_u32_e32 v232, 64, v232                               // 000000004A14: 69D1D0C0
	s_nop 0                                                    // 000000004A18: BF800000
	v_cndmask_b32_e64 v36, v237, v36, s[38:39]                 // 000000004A1C: D1000024 009A49ED
	v_cmp_lt_u32_e64 s[38:39], v233, v236                      // 000000004A24: D0C90026 0003D9E9
	v_add_u32_e32 v233, 64, v233                               // 000000004A2C: 69D3D2C0
	s_nop 0                                                    // 000000004A30: BF800000
	v_cndmask_b32_e64 v37, v237, v37, s[38:39]                 // 000000004A34: D1000025 009A4BED
	v_cmp_lt_u32_e64 s[38:39], v234, v236                      // 000000004A3C: D0C90026 0003D9EA
	v_add_u32_e32 v234, 64, v234                               // 000000004A44: 69D5D4C0
	s_nop 0                                                    // 000000004A48: BF800000
	v_cndmask_b32_e64 v38, v237, v38, s[38:39]                 // 000000004A4C: D1000026 009A4DED
	v_cmp_lt_u32_e64 s[38:39], v235, v236                      // 000000004A54: D0C90026 0003D9EB
	v_add_u32_e32 v235, 64, v235                               // 000000004A5C: 69D7D6C0
	s_nop 0                                                    // 000000004A60: BF800000
	v_cndmask_b32_e64 v39, v237, v39, s[38:39]                 // 000000004A64: D1000027 009A4FED
	v_max3_f32 v24, v32, v33, v34                              // 000000004A6C: D1D30018 048A4320
	v_max3_f32 v24, v35, v36, v24                              // 000000004A74: D1D30018 04624923
	v_max3_f32 v24, v37, v38, v24                              // 000000004A7C: D1D30018 04624D25
	v_max3_f32 v24, v38, v39, v24                              // 000000004A84: D1D30018 04624F26
	s_waitcnt lgkmcnt(14)                                      // 000000004A8C: BF8CCE7F
	ds_write_b32 v3, v24 offset:53760                          // 000000004A90: D81AD200 00001803
	v_perm_b32 v212, v197, v196, s52                           // 000000004A98: D1ED00D4 00D389C5
	v_perm_b32 v213, v197, v196, s53                           // 000000004AA0: D1ED00D5 00D789C5
	v_perm_b32 v214, v199, v198, s52                           // 000000004AA8: D1ED00D6 00D38DC7
	v_perm_b32 v215, v199, v198, s53                           // 000000004AB0: D1ED00D7 00D78DC7
	v_perm_b32 v180, v214, v212, s54                           // 000000004AB8: D1ED00B4 00DBA9D6
	v_perm_b32 v182, v214, v212, s55                           // 000000004AC0: D1ED00B6 00DFA9D6
	v_perm_b32 v184, v215, v213, s54                           // 000000004AC8: D1ED00B8 00DBABD7
	v_perm_b32 v186, v215, v213, s55                           // 000000004AD0: D1ED00BA 00DFABD7
	v_perm_b32 v216, v201, v200, s52                           // 000000004AD8: D1ED00D8 00D391C9
	v_perm_b32 v217, v201, v200, s53                           // 000000004AE0: D1ED00D9 00D791C9
	v_perm_b32 v218, v203, v202, s52                           // 000000004AE8: D1ED00DA 00D395CB
	v_perm_b32 v219, v203, v202, s53                           // 000000004AF0: D1ED00DB 00D795CB
	v_perm_b32 v181, v218, v216, s54                           // 000000004AF8: D1ED00B5 00DBB1DA
	v_perm_b32 v183, v218, v216, s55                           // 000000004B00: D1ED00B7 00DFB1DA
	v_perm_b32 v185, v219, v217, s54                           // 000000004B08: D1ED00B9 00DBB3DB
	v_perm_b32 v187, v219, v217, s55                           // 000000004B10: D1ED00BB 00DFB3DB
	s_waitcnt lgkmcnt(0)                                       // 000000004B18: BF8CC07F
	ds_read_b32 v20, v2 offset:53760                           // 000000004B1C: D86CD200 14000002
	ds_read_b32 v21, v2 offset:53824                           // 000000004B24: D86CD240 15000002
	ds_read_b32 v22, v2 offset:53888                           // 000000004B2C: D86CD280 16000002
	ds_read_b32 v23, v2 offset:53952                           // 000000004B34: D86CD2C0 17000002
	v_perm_b32 v212, v205, v204, s52                           // 000000004B3C: D1ED00D4 00D399CD
	v_perm_b32 v213, v205, v204, s53                           // 000000004B44: D1ED00D5 00D799CD
	v_perm_b32 v214, v207, v206, s52                           // 000000004B4C: D1ED00D6 00D39DCF
	v_perm_b32 v215, v207, v206, s53                           // 000000004B54: D1ED00D7 00D79DCF
	v_perm_b32 v188, v214, v212, s54                           // 000000004B5C: D1ED00BC 00DBA9D6
	v_perm_b32 v190, v214, v212, s55                           // 000000004B64: D1ED00BE 00DFA9D6
	v_perm_b32 v192, v215, v213, s54                           // 000000004B6C: D1ED00C0 00DBABD7
	v_perm_b32 v194, v215, v213, s55                           // 000000004B74: D1ED00C2 00DFABD7
	v_perm_b32 v216, v209, v208, s52                           // 000000004B7C: D1ED00D8 00D3A1D1
	v_perm_b32 v217, v209, v208, s53                           // 000000004B84: D1ED00D9 00D7A1D1
	v_perm_b32 v218, v211, v210, s52                           // 000000004B8C: D1ED00DA 00D3A5D3
	v_perm_b32 v219, v211, v210, s53                           // 000000004B94: D1ED00DB 00D7A5D3
	v_perm_b32 v189, v218, v216, s54                           // 000000004B9C: D1ED00BD 00DBB1DA
	v_perm_b32 v191, v218, v216, s55                           // 000000004BA4: D1ED00BF 00DFB1DA
	v_perm_b32 v193, v219, v217, s54                           // 000000004BAC: D1ED00C1 00DBB3DB
	v_perm_b32 v195, v219, v217, s55                           // 000000004BB4: D1ED00C3 00DFB3DB
	s_waitcnt lgkmcnt(0)                                       // 000000004BBC: BF8CC07F
	v_max3_f32 v24, v20, v21, v24                              // 000000004BC0: D1D30018 04622B14
	v_max3_f32 v24, v22, v23, v24                              // 000000004BC8: D1D30018 04622F16
	v_mov_b32_e32 v25, 0xff7fffff                              // 000000004BD0: 7E3202FF FF7FFFFF
	v_cmp_eq_u32_e64 s[38:39], v25, v12                        // 000000004BD8: D0CA0026 00021919
	v_max_f32_e32 v20, v24, v12                                // 000000004BE0: 16281918
	v_sub_f32_e32 v16, v12, v20                                // 000000004BE4: 0420290C
	v_cndmask_b32_e64 v16, v16, 0, s[38:39]                    // 000000004BE8: D1000010 00990110
	v_mov_b32_e32 v12, v20                                     // 000000004BF0: 7E180314
	v_mul_f32_e32 v21, s5, v20                                 // 000000004BF4: 0A2A2805
	v_mul_f32_e32 v16, s5, v16                                 // 000000004BF8: 0A202005
	v_exp_f32_e32 v16, v16                                     // 000000004BFC: 7E204110
	v_fma_f32 v32, v32, s5, -v21                               // 000000004C00: D1CB0020 84540B20
	v_fma_f32 v33, v33, s5, -v21                               // 000000004C08: D1CB0021 84540B21
	v_fma_f32 v34, v34, s5, -v21                               // 000000004C10: D1CB0022 84540B22
	v_fma_f32 v35, v35, s5, -v21                               // 000000004C18: D1CB0023 84540B23
	v_fma_f32 v36, v36, s5, -v21                               // 000000004C20: D1CB0024 84540B24
	v_fma_f32 v37, v37, s5, -v21                               // 000000004C28: D1CB0025 84540B25
	v_fma_f32 v38, v38, s5, -v21                               // 000000004C30: D1CB0026 84540B26
	v_fma_f32 v39, v39, s5, -v21                               // 000000004C38: D1CB0027 84540B27
	v_exp_f32_e32 v32, v32                                     // 000000004C40: 7E404120
	v_exp_f32_e32 v33, v33                                     // 000000004C44: 7E424121
	v_exp_f32_e32 v34, v34                                     // 000000004C48: 7E444122
	v_exp_f32_e32 v35, v35                                     // 000000004C4C: 7E464123
	v_exp_f32_e32 v36, v36                                     // 000000004C50: 7E484124
	v_exp_f32_e32 v37, v37                                     // 000000004C54: 7E4A4125
	v_exp_f32_e32 v38, v38                                     // 000000004C58: 7E4C4126
	v_exp_f32_e32 v39, v39                                     // 000000004C5C: 7E4E4127
	v_cvt_pk_fp8_f32 v48, v32, v33                             // 000000004C60: D2A20030 00024320
	v_cvt_pk_fp8_f32 v48, v34, v35 op_sel:[0,0,1]              // 000000004C68: D2A24030 00024722
	v_cvt_pk_fp8_f32 v49, v36, v37                             // 000000004C70: D2A20031 00024B24
	v_cvt_pk_fp8_f32 v49, v38, v39 op_sel:[0,0,1]              // 000000004C78: D2A24031 00024F26
	s_add_u32 s83, s84, s83                                    // 000000004C80: 80535354
	s_nop 0                                                    // 000000004C84: BF800000
	v_mov_b32_e32 v237, 0xff800000                             // 000000004C88: 7FDA02FF FF800000
	s_and_b32 s56, s48, 0xff                                   // 000000004C90: 8638FF30 000000FF
	v_mov_b32_e32 v236, s56                                    // 000000004C98: 7FD80238
	v_lshrrev_b32_e32 v228, 4, v0                              // 000000004C9C: 21C80084
	v_mul_i32_i24_e32 v228, 8, v228                            // 000000004CA0: 0DC9C888
	v_add_u32_e32 v229, 1, v228                                // 000000004CA4: 69CBC881
	v_add_u32_e32 v230, 2, v228                                // 000000004CA8: 69CDC882
	v_add_u32_e32 v231, 3, v228                                // 000000004CAC: 69CFC883
	v_add_u32_e32 v232, 4, v228                                // 000000004CB0: 69D1C884
	v_add_u32_e32 v233, 5, v228                                // 000000004CB4: 69D3C885
	v_add_u32_e32 v234, 6, v228                                // 000000004CB8: 69D5C886
	v_add_u32_e32 v235, 7, v228                                // 000000004CBC: 69D7C887
	v_cmp_lt_u32_e64 s[38:39], v228, v236                      // 000000004CC0: D0C90026 0003D9E4
	v_add_u32_e32 v228, 64, v228                               // 000000004CC8: 69C9C8C0
	s_nop 0                                                    // 000000004CCC: BF800000
	v_cndmask_b32_e64 v40, v237, v40, s[38:39]                 // 000000004CD0: D1000028 009A51ED
	v_cmp_lt_u32_e64 s[38:39], v229, v236                      // 000000004CD8: D0C90026 0003D9E5
	v_add_u32_e32 v229, 64, v229                               // 000000004CE0: 69CBCAC0
	s_nop 0                                                    // 000000004CE4: BF800000
	v_cndmask_b32_e64 v41, v237, v41, s[38:39]                 // 000000004CE8: D1000029 009A53ED
	v_cmp_lt_u32_e64 s[38:39], v230, v236                      // 000000004CF0: D0C90026 0003D9E6
	v_add_u32_e32 v230, 64, v230                               // 000000004CF8: 69CDCCC0
	s_nop 0                                                    // 000000004CFC: BF800000
	v_cndmask_b32_e64 v42, v237, v42, s[38:39]                 // 000000004D00: D100002A 009A55ED
	v_cmp_lt_u32_e64 s[38:39], v231, v236                      // 000000004D08: D0C90026 0003D9E7
	v_add_u32_e32 v231, 64, v231                               // 000000004D10: 69CFCEC0
	s_nop 0                                                    // 000000004D14: BF800000
	v_cndmask_b32_e64 v43, v237, v43, s[38:39]                 // 000000004D18: D100002B 009A57ED
	v_cmp_lt_u32_e64 s[38:39], v232, v236                      // 000000004D20: D0C90026 0003D9E8
	v_add_u32_e32 v232, 64, v232                               // 000000004D28: 69D1D0C0
	s_nop 0                                                    // 000000004D2C: BF800000
	v_cndmask_b32_e64 v44, v237, v44, s[38:39]                 // 000000004D30: D100002C 009A59ED
	v_cmp_lt_u32_e64 s[38:39], v233, v236                      // 000000004D38: D0C90026 0003D9E9
	v_add_u32_e32 v233, 64, v233                               // 000000004D40: 69D3D2C0
	s_nop 0                                                    // 000000004D44: BF800000
	v_cndmask_b32_e64 v45, v237, v45, s[38:39]                 // 000000004D48: D100002D 009A5BED
	v_cmp_lt_u32_e64 s[38:39], v234, v236                      // 000000004D50: D0C90026 0003D9EA
	v_add_u32_e32 v234, 64, v234                               // 000000004D58: 69D5D4C0
	s_nop 0                                                    // 000000004D5C: BF800000
	v_cndmask_b32_e64 v46, v237, v46, s[38:39]                 // 000000004D60: D100002E 009A5DED
	v_cmp_lt_u32_e64 s[38:39], v235, v236                      // 000000004D68: D0C90026 0003D9EB
	v_add_u32_e32 v235, 64, v235                               // 000000004D70: 69D7D6C0
	s_nop 0                                                    // 000000004D74: BF800000
	v_cndmask_b32_e64 v47, v237, v47, s[38:39]                 // 000000004D78: D100002F 009A5FED
	v_mov_b32_e32 v22, v16                                     // 000000004D80: 7E2C0310
	v_mov_b32_e32 v23, v16                                     // 000000004D84: 7E2E0310
	v_pk_mul_f32 v[52:53], v[22:23], v[52:53]                  // 000000004D88: D3B14034 18026916
	v_pk_mul_f32 v[54:55], v[22:23], v[54:55]                  // 000000004D90: D3B14036 18026D16
	v_pk_mul_f32 v[56:57], v[22:23], v[56:57]                  // 000000004D98: D3B14038 18027116
	v_pk_mul_f32 v[58:59], v[22:23], v[58:59]                  // 000000004DA0: D3B1403A 18027516
	v_pk_mul_f32 v[60:61], v[22:23], v[60:61]                  // 000000004DA8: D3B1403C 18027916
	v_pk_mul_f32 v[62:63], v[22:23], v[62:63]                  // 000000004DB0: D3B1403E 18027D16
	v_pk_mul_f32 v[64:65], v[22:23], v[64:65]                  // 000000004DB8: D3B14040 18028116
	v_pk_mul_f32 v[66:67], v[22:23], v[66:67]                  // 000000004DC0: D3B14042 18028516
	v_pk_mul_f32 v[68:69], v[22:23], v[68:69]                  // 000000004DC8: D3B14044 18028916
	v_pk_mul_f32 v[70:71], v[22:23], v[70:71]                  // 000000004DD0: D3B14046 18028D16
	v_pk_mul_f32 v[72:73], v[22:23], v[72:73]                  // 000000004DD8: D3B14048 18029116
	v_pk_mul_f32 v[74:75], v[22:23], v[74:75]                  // 000000004DE0: D3B1404A 18029516
	v_pk_mul_f32 v[76:77], v[22:23], v[76:77]                  // 000000004DE8: D3B1404C 18029916
	v_pk_mul_f32 v[78:79], v[22:23], v[78:79]                  // 000000004DF0: D3B1404E 18029D16
	v_pk_mul_f32 v[80:81], v[22:23], v[80:81]                  // 000000004DF8: D3B14050 1802A116
	v_pk_mul_f32 v[82:83], v[22:23], v[82:83]                  // 000000004E00: D3B14052 1802A516
	v_pk_mul_f32 v[84:85], v[22:23], v[84:85]                  // 000000004E08: D3B14054 1802A916
	v_pk_mul_f32 v[86:87], v[22:23], v[86:87]                  // 000000004E10: D3B14056 1802AD16
	v_pk_mul_f32 v[88:89], v[22:23], v[88:89]                  // 000000004E18: D3B14058 1802B116
	v_pk_mul_f32 v[90:91], v[22:23], v[90:91]                  // 000000004E20: D3B1405A 1802B516
	v_pk_mul_f32 v[92:93], v[22:23], v[92:93]                  // 000000004E28: D3B1405C 1802B916
	v_pk_mul_f32 v[94:95], v[22:23], v[94:95]                  // 000000004E30: D3B1405E 1802BD16
	v_pk_mul_f32 v[96:97], v[22:23], v[96:97]                  // 000000004E38: D3B14060 1802C116
	v_pk_mul_f32 v[98:99], v[22:23], v[98:99]                  // 000000004E40: D3B14062 1802C516
	v_pk_mul_f32 v[100:101], v[22:23], v[100:101]              // 000000004E48: D3B14064 1802C916
	v_pk_mul_f32 v[102:103], v[22:23], v[102:103]              // 000000004E50: D3B14066 1802CD16
	v_pk_mul_f32 v[104:105], v[22:23], v[104:105]              // 000000004E58: D3B14068 1802D116
	v_pk_mul_f32 v[106:107], v[22:23], v[106:107]              // 000000004E60: D3B1406A 1802D516
	v_pk_mul_f32 v[108:109], v[22:23], v[108:109]              // 000000004E68: D3B1406C 1802D916
	v_pk_mul_f32 v[110:111], v[22:23], v[110:111]              // 000000004E70: D3B1406E 1802DD16
	v_pk_mul_f32 v[112:113], v[22:23], v[112:113]              // 000000004E78: D3B14070 1802E116
	v_pk_mul_f32 v[114:115], v[22:23], v[114:115]              // 000000004E80: D3B14072 1802E516
	v_pk_mul_f32 v[116:117], v[22:23], v[116:117]              // 000000004E88: D3B14074 1802E916
	v_pk_mul_f32 v[118:119], v[22:23], v[118:119]              // 000000004E90: D3B14076 1802ED16
	v_pk_mul_f32 v[120:121], v[22:23], v[120:121]              // 000000004E98: D3B14078 1802F116
	v_pk_mul_f32 v[122:123], v[22:23], v[122:123]              // 000000004EA0: D3B1407A 1802F516
	v_pk_mul_f32 v[124:125], v[22:23], v[124:125]              // 000000004EA8: D3B1407C 1802F916
	v_pk_mul_f32 v[126:127], v[22:23], v[126:127]              // 000000004EB0: D3B1407E 1802FD16
	v_pk_mul_f32 v[128:129], v[22:23], v[128:129]              // 000000004EB8: D3B14080 18030116
	v_pk_mul_f32 v[130:131], v[22:23], v[130:131]              // 000000004EC0: D3B14082 18030516
	v_pk_mul_f32 v[132:133], v[22:23], v[132:133]              // 000000004EC8: D3B14084 18030916
	v_pk_mul_f32 v[134:135], v[22:23], v[134:135]              // 000000004ED0: D3B14086 18030D16
	v_pk_mul_f32 v[136:137], v[22:23], v[136:137]              // 000000004ED8: D3B14088 18031116
	v_pk_mul_f32 v[138:139], v[22:23], v[138:139]              // 000000004EE0: D3B1408A 18031516
	v_pk_mul_f32 v[140:141], v[22:23], v[140:141]              // 000000004EE8: D3B1408C 18031916
	v_pk_mul_f32 v[142:143], v[22:23], v[142:143]              // 000000004EF0: D3B1408E 18031D16
	v_pk_mul_f32 v[144:145], v[22:23], v[144:145]              // 000000004EF8: D3B14090 18032116
	v_pk_mul_f32 v[146:147], v[22:23], v[146:147]              // 000000004F00: D3B14092 18032516
	v_pk_mul_f32 v[148:149], v[22:23], v[148:149]              // 000000004F08: D3B14094 18032916
	v_pk_mul_f32 v[150:151], v[22:23], v[150:151]              // 000000004F10: D3B14096 18032D16
	v_pk_mul_f32 v[152:153], v[22:23], v[152:153]              // 000000004F18: D3B14098 18033116
	v_pk_mul_f32 v[154:155], v[22:23], v[154:155]              // 000000004F20: D3B1409A 18033516
	v_pk_mul_f32 v[156:157], v[22:23], v[156:157]              // 000000004F28: D3B1409C 18033916
	v_pk_mul_f32 v[158:159], v[22:23], v[158:159]              // 000000004F30: D3B1409E 18033D16
	v_pk_mul_f32 v[160:161], v[22:23], v[160:161]              // 000000004F38: D3B140A0 18034116
	v_pk_mul_f32 v[162:163], v[22:23], v[162:163]              // 000000004F40: D3B140A2 18034516
	v_pk_mul_f32 v[164:165], v[22:23], v[164:165]              // 000000004F48: D3B140A4 18034916
	v_pk_mul_f32 v[166:167], v[22:23], v[166:167]              // 000000004F50: D3B140A6 18034D16
	v_pk_mul_f32 v[168:169], v[22:23], v[168:169]              // 000000004F58: D3B140A8 18035116
	v_pk_mul_f32 v[170:171], v[22:23], v[170:171]              // 000000004F60: D3B140AA 18035516
	v_pk_mul_f32 v[172:173], v[22:23], v[172:173]              // 000000004F68: D3B140AC 18035916
	v_pk_mul_f32 v[174:175], v[22:23], v[174:175]              // 000000004F70: D3B140AE 18035D16
	v_pk_mul_f32 v[176:177], v[22:23], v[176:177]              // 000000004F78: D3B140B0 18036116
	v_pk_mul_f32 v[178:179], v[22:23], v[178:179]              // 000000004F80: D3B140B2 18036516
	v_mul_f32_e32 v14, v16, v14                                // 000000004F88: 0A1C1D10
	v_mov_b32_e32 v22, v32                                     // 000000004F8C: 7E2C0320
	v_add_f32_e32 v22, v33, v22                                // 000000004F90: 022C2D21
	v_add_f32_e32 v22, v34, v22                                // 000000004F94: 022C2D22
	v_add_f32_e32 v22, v35, v22                                // 000000004F98: 022C2D23
	v_add_f32_e32 v22, v36, v22                                // 000000004F9C: 022C2D24
	v_add_f32_e32 v22, v37, v22                                // 000000004FA0: 022C2D25
	v_add_f32_e32 v22, v38, v22                                // 000000004FA4: 022C2D26
	v_add_f32_e32 v22, v39, v22                                // 000000004FA8: 022C2D27
	v_add_f32_e32 v14, v22, v14                                // 000000004FAC: 021C1D16
	v_mfma_f32_16x16x32_fp8_fp8 v[52:55], a[108:109], v[48:49], v[52:55]// 000000004FB0: D3F30034 0CD2616C
	v_mfma_f32_16x16x32_fp8_fp8 v[56:59], a[110:111], v[48:49], v[56:59]// 000000004FB8: D3F30038 0CE2616E
	v_mfma_f32_16x16x32_fp8_fp8 v[60:63], a[112:113], v[48:49], v[60:63]// 000000004FC0: D3F3003C 0CF26170
	v_mfma_f32_16x16x32_fp8_fp8 v[64:67], a[114:115], v[48:49], v[64:67]// 000000004FC8: D3F30040 0D026172
	v_mfma_f32_16x16x32_fp8_fp8 v[68:71], a[116:117], v[48:49], v[68:71]// 000000004FD0: D3F30044 0D126174
	v_mfma_f32_16x16x32_fp8_fp8 v[72:75], a[118:119], v[48:49], v[72:75]// 000000004FD8: D3F30048 0D226176
	v_mfma_f32_16x16x32_fp8_fp8 v[76:79], a[120:121], v[48:49], v[76:79]// 000000004FE0: D3F3004C 0D326178
	v_mfma_f32_16x16x32_fp8_fp8 v[80:83], a[122:123], v[48:49], v[80:83]// 000000004FE8: D3F30050 0D42617A
	v_mfma_f32_16x16x32_fp8_fp8 v[84:87], a[124:125], v[48:49], v[84:87]// 000000004FF0: D3F30054 0D52617C
	v_mfma_f32_16x16x32_fp8_fp8 v[88:91], a[126:127], v[48:49], v[88:91]// 000000004FF8: D3F30058 0D62617E
	v_mfma_f32_16x16x32_fp8_fp8 v[92:95], a[128:129], v[48:49], v[92:95]// 000000005000: D3F3005C 0D726180
	v_mfma_f32_16x16x32_fp8_fp8 v[96:99], a[130:131], v[48:49], v[96:99]// 000000005008: D3F30060 0D826182
	v_mfma_f32_16x16x32_fp8_fp8 v[100:103], a[132:133], v[48:49], v[100:103]// 000000005010: D3F30064 0D926184
	v_mfma_f32_16x16x32_fp8_fp8 v[104:107], a[134:135], v[48:49], v[104:107]// 000000005018: D3F30068 0DA26186
	v_mfma_f32_16x16x32_fp8_fp8 v[108:111], a[136:137], v[48:49], v[108:111]// 000000005020: D3F3006C 0DB26188
	v_mfma_f32_16x16x32_fp8_fp8 v[112:115], a[138:139], v[48:49], v[112:115]// 000000005028: D3F30070 0DC2618A
	v_mfma_f32_16x16x32_fp8_fp8 v[116:119], a[140:141], v[48:49], v[116:119]// 000000005030: D3F30074 0DD2618C
	v_mfma_f32_16x16x32_fp8_fp8 v[120:123], a[142:143], v[48:49], v[120:123]// 000000005038: D3F30078 0DE2618E
	v_mfma_f32_16x16x32_fp8_fp8 v[124:127], a[144:145], v[48:49], v[124:127]// 000000005040: D3F3007C 0DF26190
	v_mfma_f32_16x16x32_fp8_fp8 v[128:131], a[146:147], v[48:49], v[128:131]// 000000005048: D3F30080 0E026192
	v_mfma_f32_16x16x32_fp8_fp8 v[132:135], a[148:149], v[48:49], v[132:135]// 000000005050: D3F30084 0E126194
	v_mfma_f32_16x16x32_fp8_fp8 v[136:139], a[150:151], v[48:49], v[136:139]// 000000005058: D3F30088 0E226196
	v_mfma_f32_16x16x32_fp8_fp8 v[140:143], a[152:153], v[48:49], v[140:143]// 000000005060: D3F3008C 0E326198
	v_mfma_f32_16x16x32_fp8_fp8 v[144:147], a[154:155], v[48:49], v[144:147]// 000000005068: D3F30090 0E42619A
	v_mfma_f32_16x16x32_fp8_fp8 v[148:151], a[156:157], v[48:49], v[148:151]// 000000005070: D3F30094 0E52619C
	v_mfma_f32_16x16x32_fp8_fp8 v[152:155], a[158:159], v[48:49], v[152:155]// 000000005078: D3F30098 0E62619E
	v_mfma_f32_16x16x32_fp8_fp8 v[156:159], a[160:161], v[48:49], v[156:159]// 000000005080: D3F3009C 0E7261A0
	v_mfma_f32_16x16x32_fp8_fp8 v[160:163], a[162:163], v[48:49], v[160:163]// 000000005088: D3F300A0 0E8261A2
	v_mfma_f32_16x16x32_fp8_fp8 v[164:167], a[164:165], v[48:49], v[164:167]// 000000005090: D3F300A4 0E9261A4
	v_mfma_f32_16x16x32_fp8_fp8 v[168:171], a[166:167], v[48:49], v[168:171]// 000000005098: D3F300A8 0EA261A6
	v_mfma_f32_16x16x32_fp8_fp8 v[172:175], a[168:169], v[48:49], v[172:175]// 0000000050A0: D3F300AC 0EB261A8
	v_mfma_f32_16x16x32_fp8_fp8 v[176:179], a[170:171], v[48:49], v[176:179]// 0000000050A8: D3F300B0 0EC261AA
	s_nop 8                                                    // 0000000050B0: BF800008
	s_branch label_0DDD                                        // 0000000050B4: BF82026F

00000000000050b8 <label_0B6E>:
	s_waitcnt lgkmcnt(9)                                       // 0000000050B8: BF8CC97F
	v_mfma_f32_16x16x32_fp8_fp8 v[32:35], a[36:37], a[0:1], 0  // 0000000050BC: D3F30020 1A020124
	v_mfma_f32_16x16x32_fp8_fp8 v[32:35], a[38:39], a[2:3], v[32:35]// 0000000050C4: D3F30020 1C820526
	v_mfma_f32_16x16x32_fp8_fp8 v[32:35], a[40:41], a[4:5], v[32:35]// 0000000050CC: D3F30020 1C820928
	v_mfma_f32_16x16x32_fp8_fp8 v[32:35], a[42:43], a[6:7], v[32:35]// 0000000050D4: D3F30020 1C820D2A
	v_mfma_f32_16x16x32_fp8_fp8 v[32:35], a[44:45], a[8:9], v[32:35]// 0000000050DC: D3F30020 1C82112C
	v_mfma_f32_16x16x32_fp8_fp8 v[32:35], a[46:47], a[10:11], v[32:35]// 0000000050E4: D3F30020 1C82152E
	ds_read_b128 a[120:123], v7 offset:40448                   // 0000000050EC: DBFE9E00 78000007
	v_mfma_f32_16x16x32_fp8_fp8 v[32:35], a[48:49], a[12:13], v[32:35]// 0000000050F4: D3F30020 1C821930
	v_mfma_f32_16x16x32_fp8_fp8 v[32:35], a[50:51], a[14:15], v[32:35]// 0000000050FC: D3F30020 1C821D32
	ds_read_b128 a[124:127], v7 offset:41472                   // 000000005104: DBFEA200 7C000007
	v_mfma_f32_16x16x32_fp8_fp8 v[32:35], a[52:53], a[16:17], v[32:35]// 00000000510C: D3F30020 1C822134
	v_mfma_f32_16x16x32_fp8_fp8 v[32:35], a[54:55], a[18:19], v[32:35]// 000000005114: D3F30020 1C822536
	ds_read_b128 a[128:131], v7 offset:42496                   // 00000000511C: DBFEA600 80000007
	v_mfma_f32_16x16x32_fp8_fp8 v[32:35], a[56:57], a[20:21], v[32:35]// 000000005124: D3F30020 1C822938
	v_mfma_f32_16x16x32_fp8_fp8 v[32:35], a[58:59], a[22:23], v[32:35]// 00000000512C: D3F30020 1C822D3A
	ds_read_b128 a[132:135], v7 offset:43520                   // 000000005134: DBFEAA00 84000007
	v_mfma_f32_16x16x32_fp8_fp8 v[32:35], a[60:61], a[24:25], v[32:35]// 00000000513C: D3F30020 1C82313C
	v_mfma_f32_16x16x32_fp8_fp8 v[32:35], a[62:63], a[26:27], v[32:35]// 000000005144: D3F30020 1C82353E
	ds_read_b128 a[136:139], v7 offset:44544                   // 00000000514C: DBFEAE00 88000007
	v_mfma_f32_16x16x32_fp8_fp8 v[32:35], a[64:65], a[28:29], v[32:35]// 000000005154: D3F30020 1C823940
	v_mfma_f32_16x16x32_fp8_fp8 v[32:35], a[66:67], a[30:31], v[32:35]// 00000000515C: D3F30020 1C823D42
	v_mfma_f32_16x16x32_fp8_fp8 v[32:35], a[68:69], a[32:33], v[32:35]// 000000005164: D3F30020 1C824144
	v_mfma_f32_16x16x32_fp8_fp8 v[32:35], a[70:71], a[34:35], v[32:35]// 00000000516C: D3F30020 1C824546
	ds_read_b128 a[140:143], v7 offset:45568                   // 000000005174: DBFEB200 8C000007
	v_mfma_f32_16x16x32_fp8_fp8 v[36:39], a[72:73], a[0:1], 0  // 00000000517C: D3F30024 1A020148
	v_mfma_f32_16x16x32_fp8_fp8 v[36:39], a[74:75], a[2:3], v[36:39]// 000000005184: D3F30024 1C92054A
	v_mfma_f32_16x16x32_fp8_fp8 v[36:39], a[76:77], a[4:5], v[36:39]// 00000000518C: D3F30024 1C92094C
	v_mfma_f32_16x16x32_fp8_fp8 v[36:39], a[78:79], a[6:7], v[36:39]// 000000005194: D3F30024 1C920D4E
	ds_read_b128 a[144:147], v7 offset:46592                   // 00000000519C: DBFEB600 90000007
	v_mfma_f32_16x16x32_fp8_fp8 v[36:39], a[80:81], a[8:9], v[36:39]// 0000000051A4: D3F30024 1C921150
	v_mfma_f32_16x16x32_fp8_fp8 v[36:39], a[82:83], a[10:11], v[36:39]// 0000000051AC: D3F30024 1C921552
	v_mfma_f32_16x16x32_fp8_fp8 v[36:39], a[84:85], a[12:13], v[36:39]// 0000000051B4: D3F30024 1C921954
	v_mfma_f32_16x16x32_fp8_fp8 v[36:39], a[86:87], a[14:15], v[36:39]// 0000000051BC: D3F30024 1C921D56
	ds_read_b128 a[148:151], v7 offset:47616                   // 0000000051C4: DBFEBA00 94000007
	v_mfma_f32_16x16x32_fp8_fp8 v[36:39], a[88:89], a[16:17], v[36:39]// 0000000051CC: D3F30024 1C922158
	v_mfma_f32_16x16x32_fp8_fp8 v[36:39], a[90:91], a[18:19], v[36:39]// 0000000051D4: D3F30024 1C92255A
	ds_read_b128 a[152:155], v7 offset:48640                   // 0000000051DC: DBFEBE00 98000007
	v_mfma_f32_16x16x32_fp8_fp8 v[36:39], a[92:93], a[20:21], v[36:39]// 0000000051E4: D3F30024 1C92295C
	v_mfma_f32_16x16x32_fp8_fp8 v[36:39], a[94:95], a[22:23], v[36:39]// 0000000051EC: D3F30024 1C922D5E
	ds_read_b128 a[156:159], v7 offset:49664                   // 0000000051F4: DBFEC200 9C000007
	v_mfma_f32_16x16x32_fp8_fp8 v[36:39], a[96:97], a[24:25], v[36:39]// 0000000051FC: D3F30024 1C923160
	v_mfma_f32_16x16x32_fp8_fp8 v[36:39], a[98:99], a[26:27], v[36:39]// 000000005204: D3F30024 1C923562
	ds_read_b128 a[160:163], v7 offset:50688                   // 00000000520C: DBFEC600 A0000007
	v_mfma_f32_16x16x32_fp8_fp8 v[36:39], a[100:101], a[28:29], v[36:39]// 000000005214: D3F30024 1C923964
	v_mfma_f32_16x16x32_fp8_fp8 v[36:39], a[102:103], a[30:31], v[36:39]// 00000000521C: D3F30024 1C923D66
	ds_read_b128 a[164:167], v7 offset:51712                   // 000000005224: DBFECA00 A4000007
	v_mfma_f32_16x16x32_fp8_fp8 v[36:39], a[104:105], a[32:33], v[36:39]// 00000000522C: D3F30024 1C924168
	v_mfma_f32_16x16x32_fp8_fp8 v[36:39], a[106:107], a[34:35], v[36:39]// 000000005234: D3F30024 1C92456A
	ds_read_b128 a[168:171], v7 offset:52736                   // 00000000523C: DBFECE00 A8000007
	s_nop 4                                                    // 000000005244: BF800004
	s_cmp_le_i32 s83, s82                                      // 000000005248: BF055253
	s_cbranch_scc1 label_0C0C                                  // 00000000524C: BF850038
	v_mov_b32_e32 v237, 0xff800000                             // 000000005250: 7FDA02FF FF800000
	s_add_u32 s57, s82, 0                                      // 000000005258: 80398052
	v_mov_b32_e32 v236, s57                                    // 00000000525C: 7FD80239
	v_add_u32_e32 v236, s7, v236                               // 000000005260: 69D9D807
	s_sub_u32 s56, s83, 31                                     // 000000005264: 80B89F53
	v_lshrrev_b32_e32 v228, 4, v0                              // 000000005268: 21C80084
	v_mul_i32_i24_e32 v228, 8, v228                            // 00000000526C: 0DC9C888
	v_add_u32_e32 v228, s56, v228                              // 000000005270: 69C9C838
	v_add_u32_e32 v229, 1, v228                                // 000000005274: 69CBC881
	v_add_u32_e32 v230, 2, v228                                // 000000005278: 69CDC882
	v_add_u32_e32 v231, 3, v228                                // 00000000527C: 69CFC883
	v_add_u32_e32 v232, 4, v228                                // 000000005280: 69D1C884
	v_add_u32_e32 v233, 5, v228                                // 000000005284: 69D3C885
	v_add_u32_e32 v234, 6, v228                                // 000000005288: 69D5C886
	v_add_u32_e32 v235, 7, v228                                // 00000000528C: 69D7C887
	v_cmp_le_u32_e64 s[38:39], v228, v236                      // 000000005290: D0CB0026 0003D9E4
	s_nop 0                                                    // 000000005298: BF800000
	v_cndmask_b32_e64 v32, v237, v32, s[38:39]                 // 00000000529C: D1000020 009A41ED
	v_cmp_le_u32_e64 s[38:39], v229, v236                      // 0000000052A4: D0CB0026 0003D9E5
	s_nop 0                                                    // 0000000052AC: BF800000
	v_cndmask_b32_e64 v33, v237, v33, s[38:39]                 // 0000000052B0: D1000021 009A43ED
	v_cmp_le_u32_e64 s[38:39], v230, v236                      // 0000000052B8: D0CB0026 0003D9E6
	s_nop 0                                                    // 0000000052C0: BF800000
	v_cndmask_b32_e64 v34, v237, v34, s[38:39]                 // 0000000052C4: D1000022 009A45ED
	v_cmp_le_u32_e64 s[38:39], v231, v236                      // 0000000052CC: D0CB0026 0003D9E7
	s_nop 0                                                    // 0000000052D4: BF800000
	v_cndmask_b32_e64 v35, v237, v35, s[38:39]                 // 0000000052D8: D1000023 009A47ED
	v_cmp_le_u32_e64 s[38:39], v232, v236                      // 0000000052E0: D0CB0026 0003D9E8
	s_nop 0                                                    // 0000000052E8: BF800000
	v_cndmask_b32_e64 v36, v237, v36, s[38:39]                 // 0000000052EC: D1000024 009A49ED
	v_cmp_le_u32_e64 s[38:39], v233, v236                      // 0000000052F4: D0CB0026 0003D9E9
	s_nop 0                                                    // 0000000052FC: BF800000
	v_cndmask_b32_e64 v37, v237, v37, s[38:39]                 // 000000005300: D1000025 009A4BED
	v_cmp_le_u32_e64 s[38:39], v234, v236                      // 000000005308: D0CB0026 0003D9EA
	s_nop 0                                                    // 000000005310: BF800000
	v_cndmask_b32_e64 v38, v237, v38, s[38:39]                 // 000000005314: D1000026 009A4DED
	v_cmp_le_u32_e64 s[38:39], v235, v236                      // 00000000531C: D0CB0026 0003D9EB
	s_nop 0                                                    // 000000005324: BF800000
	v_cndmask_b32_e64 v39, v237, v39, s[38:39]                 // 000000005328: D1000027 009A4FED

0000000000005330 <label_0C0C>:
	v_mov_b32_e32 v237, 0xff800000                             // 000000005330: 7FDA02FF FF800000
	s_and_b32 s56, s48, 0xff                                   // 000000005338: 8638FF30 000000FF
	v_mov_b32_e32 v236, s56                                    // 000000005340: 7FD80238
	v_lshrrev_b32_e32 v228, 4, v0                              // 000000005344: 21C80084
	v_mul_i32_i24_e32 v228, 8, v228                            // 000000005348: 0DC9C888
	v_add_u32_e32 v229, 1, v228                                // 00000000534C: 69CBC881
	v_add_u32_e32 v230, 2, v228                                // 000000005350: 69CDC882
	v_add_u32_e32 v231, 3, v228                                // 000000005354: 69CFC883
	v_add_u32_e32 v232, 4, v228                                // 000000005358: 69D1C884
	v_add_u32_e32 v233, 5, v228                                // 00000000535C: 69D3C885
	v_add_u32_e32 v234, 6, v228                                // 000000005360: 69D5C886
	v_add_u32_e32 v235, 7, v228                                // 000000005364: 69D7C887
	v_cmp_lt_u32_e64 s[38:39], v228, v236                      // 000000005368: D0C90026 0003D9E4
	v_add_u32_e32 v228, 64, v228                               // 000000005370: 69C9C8C0
	s_nop 0                                                    // 000000005374: BF800000
	v_cndmask_b32_e64 v32, v237, v32, s[38:39]                 // 000000005378: D1000020 009A41ED
	v_cmp_lt_u32_e64 s[38:39], v229, v236                      // 000000005380: D0C90026 0003D9E5
	v_add_u32_e32 v229, 64, v229                               // 000000005388: 69CBCAC0
	s_nop 0                                                    // 00000000538C: BF800000
	v_cndmask_b32_e64 v33, v237, v33, s[38:39]                 // 000000005390: D1000021 009A43ED
	v_cmp_lt_u32_e64 s[38:39], v230, v236                      // 000000005398: D0C90026 0003D9E6
	v_add_u32_e32 v230, 64, v230                               // 0000000053A0: 69CDCCC0
	s_nop 0                                                    // 0000000053A4: BF800000
	v_cndmask_b32_e64 v34, v237, v34, s[38:39]                 // 0000000053A8: D1000022 009A45ED
	v_cmp_lt_u32_e64 s[38:39], v231, v236                      // 0000000053B0: D0C90026 0003D9E7
	v_add_u32_e32 v231, 64, v231                               // 0000000053B8: 69CFCEC0
	s_nop 0                                                    // 0000000053BC: BF800000
	v_cndmask_b32_e64 v35, v237, v35, s[38:39]                 // 0000000053C0: D1000023 009A47ED
	v_cmp_lt_u32_e64 s[38:39], v232, v236                      // 0000000053C8: D0C90026 0003D9E8
	v_add_u32_e32 v232, 64, v232                               // 0000000053D0: 69D1D0C0
	s_nop 0                                                    // 0000000053D4: BF800000
	v_cndmask_b32_e64 v36, v237, v36, s[38:39]                 // 0000000053D8: D1000024 009A49ED
	v_cmp_lt_u32_e64 s[38:39], v233, v236                      // 0000000053E0: D0C90026 0003D9E9
	v_add_u32_e32 v233, 64, v233                               // 0000000053E8: 69D3D2C0
	s_nop 0                                                    // 0000000053EC: BF800000
	v_cndmask_b32_e64 v37, v237, v37, s[38:39]                 // 0000000053F0: D1000025 009A4BED
	v_cmp_lt_u32_e64 s[38:39], v234, v236                      // 0000000053F8: D0C90026 0003D9EA
	v_add_u32_e32 v234, 64, v234                               // 000000005400: 69D5D4C0
	s_nop 0                                                    // 000000005404: BF800000
	v_cndmask_b32_e64 v38, v237, v38, s[38:39]                 // 000000005408: D1000026 009A4DED
	v_cmp_lt_u32_e64 s[38:39], v235, v236                      // 000000005410: D0C90026 0003D9EB
	v_add_u32_e32 v235, 64, v235                               // 000000005418: 69D7D6C0
	s_nop 0                                                    // 00000000541C: BF800000
	v_cndmask_b32_e64 v39, v237, v39, s[38:39]                 // 000000005420: D1000027 009A4FED
	v_max3_f32 v24, v32, v33, v34                              // 000000005428: D1D30018 048A4320
	v_max3_f32 v24, v35, v36, v24                              // 000000005430: D1D30018 04624923
	v_max3_f32 v24, v37, v38, v24                              // 000000005438: D1D30018 04624D25
	v_max3_f32 v24, v38, v39, v24                              // 000000005440: D1D30018 04624F26
	s_waitcnt lgkmcnt(14)                                      // 000000005448: BF8CCE7F
	ds_write_b32 v3, v24 offset:53760                          // 00000000544C: D81AD200 00001803
	v_perm_b32 v212, v197, v196, s52                           // 000000005454: D1ED00D4 00D389C5
	v_perm_b32 v213, v197, v196, s53                           // 00000000545C: D1ED00D5 00D789C5
	v_perm_b32 v214, v199, v198, s52                           // 000000005464: D1ED00D6 00D38DC7
	v_perm_b32 v215, v199, v198, s53                           // 00000000546C: D1ED00D7 00D78DC7
	v_perm_b32 v180, v214, v212, s54                           // 000000005474: D1ED00B4 00DBA9D6
	v_perm_b32 v182, v214, v212, s55                           // 00000000547C: D1ED00B6 00DFA9D6
	v_perm_b32 v184, v215, v213, s54                           // 000000005484: D1ED00B8 00DBABD7
	v_perm_b32 v186, v215, v213, s55                           // 00000000548C: D1ED00BA 00DFABD7
	v_perm_b32 v216, v201, v200, s52                           // 000000005494: D1ED00D8 00D391C9
	v_perm_b32 v217, v201, v200, s53                           // 00000000549C: D1ED00D9 00D791C9
	v_perm_b32 v218, v203, v202, s52                           // 0000000054A4: D1ED00DA 00D395CB
	v_perm_b32 v219, v203, v202, s53                           // 0000000054AC: D1ED00DB 00D795CB
	v_perm_b32 v181, v218, v216, s54                           // 0000000054B4: D1ED00B5 00DBB1DA
	v_perm_b32 v183, v218, v216, s55                           // 0000000054BC: D1ED00B7 00DFB1DA
	v_perm_b32 v185, v219, v217, s54                           // 0000000054C4: D1ED00B9 00DBB3DB
	v_perm_b32 v187, v219, v217, s55                           // 0000000054CC: D1ED00BB 00DFB3DB
	s_waitcnt lgkmcnt(0)                                       // 0000000054D4: BF8CC07F
	ds_read_b32 v20, v2 offset:53760                           // 0000000054D8: D86CD200 14000002
	ds_read_b32 v21, v2 offset:53824                           // 0000000054E0: D86CD240 15000002
	ds_read_b32 v22, v2 offset:53888                           // 0000000054E8: D86CD280 16000002
	ds_read_b32 v23, v2 offset:53952                           // 0000000054F0: D86CD2C0 17000002
	v_perm_b32 v212, v205, v204, s52                           // 0000000054F8: D1ED00D4 00D399CD
	v_perm_b32 v213, v205, v204, s53                           // 000000005500: D1ED00D5 00D799CD
	v_perm_b32 v214, v207, v206, s52                           // 000000005508: D1ED00D6 00D39DCF
	v_perm_b32 v215, v207, v206, s53                           // 000000005510: D1ED00D7 00D79DCF
	v_perm_b32 v188, v214, v212, s54                           // 000000005518: D1ED00BC 00DBA9D6
	v_perm_b32 v190, v214, v212, s55                           // 000000005520: D1ED00BE 00DFA9D6
	v_perm_b32 v192, v215, v213, s54                           // 000000005528: D1ED00C0 00DBABD7
	v_perm_b32 v194, v215, v213, s55                           // 000000005530: D1ED00C2 00DFABD7
	v_perm_b32 v216, v209, v208, s52                           // 000000005538: D1ED00D8 00D3A1D1
	v_perm_b32 v217, v209, v208, s53                           // 000000005540: D1ED00D9 00D7A1D1
	v_perm_b32 v218, v211, v210, s52                           // 000000005548: D1ED00DA 00D3A5D3
	v_perm_b32 v219, v211, v210, s53                           // 000000005550: D1ED00DB 00D7A5D3
	v_perm_b32 v189, v218, v216, s54                           // 000000005558: D1ED00BD 00DBB1DA
	v_perm_b32 v191, v218, v216, s55                           // 000000005560: D1ED00BF 00DFB1DA
	v_perm_b32 v193, v219, v217, s54                           // 000000005568: D1ED00C1 00DBB3DB
	v_perm_b32 v195, v219, v217, s55                           // 000000005570: D1ED00C3 00DFB3DB
	s_waitcnt lgkmcnt(0)                                       // 000000005578: BF8CC07F
	v_max3_f32 v24, v20, v21, v24                              // 00000000557C: D1D30018 04622B14
	v_max3_f32 v24, v22, v23, v24                              // 000000005584: D1D30018 04622F16
	v_mov_b32_e32 v25, 0xff7fffff                              // 00000000558C: 7E3202FF FF7FFFFF
	v_cmp_eq_u32_e64 s[38:39], v25, v12                        // 000000005594: D0CA0026 00021919
	v_max_f32_e32 v20, v24, v12                                // 00000000559C: 16281918
	v_sub_f32_e32 v16, v12, v20                                // 0000000055A0: 0420290C
	v_cndmask_b32_e64 v16, v16, 0, s[38:39]                    // 0000000055A4: D1000010 00990110
	v_mov_b32_e32 v12, v20                                     // 0000000055AC: 7E180314
	v_mul_f32_e32 v21, s5, v20                                 // 0000000055B0: 0A2A2805
	v_mul_f32_e32 v16, s5, v16                                 // 0000000055B4: 0A202005
	v_exp_f32_e32 v16, v16                                     // 0000000055B8: 7E204110
	v_fma_f32 v32, v32, s5, -v21                               // 0000000055BC: D1CB0020 84540B20
	v_fma_f32 v33, v33, s5, -v21                               // 0000000055C4: D1CB0021 84540B21
	v_fma_f32 v34, v34, s5, -v21                               // 0000000055CC: D1CB0022 84540B22
	v_fma_f32 v35, v35, s5, -v21                               // 0000000055D4: D1CB0023 84540B23
	v_fma_f32 v36, v36, s5, -v21                               // 0000000055DC: D1CB0024 84540B24
	v_fma_f32 v37, v37, s5, -v21                               // 0000000055E4: D1CB0025 84540B25
	v_fma_f32 v38, v38, s5, -v21                               // 0000000055EC: D1CB0026 84540B26
	v_fma_f32 v39, v39, s5, -v21                               // 0000000055F4: D1CB0027 84540B27
	v_exp_f32_e32 v32, v32                                     // 0000000055FC: 7E404120
	v_exp_f32_e32 v33, v33                                     // 000000005600: 7E424121
	v_exp_f32_e32 v34, v34                                     // 000000005604: 7E444122
	v_exp_f32_e32 v35, v35                                     // 000000005608: 7E464123
	v_exp_f32_e32 v36, v36                                     // 00000000560C: 7E484124
	v_exp_f32_e32 v37, v37                                     // 000000005610: 7E4A4125
	v_exp_f32_e32 v38, v38                                     // 000000005614: 7E4C4126
	v_exp_f32_e32 v39, v39                                     // 000000005618: 7E4E4127
	v_cvt_pk_fp8_f32 v48, v32, v33                             // 00000000561C: D2A20030 00024320
	v_cvt_pk_fp8_f32 v48, v34, v35 op_sel:[0,0,1]              // 000000005624: D2A24030 00024722
	v_cvt_pk_fp8_f32 v49, v36, v37                             // 00000000562C: D2A20031 00024B24
	v_cvt_pk_fp8_f32 v49, v38, v39 op_sel:[0,0,1]              // 000000005634: D2A24031 00024F26
	s_add_u32 s83, s84, s83                                    // 00000000563C: 80535354
	s_nop 0                                                    // 000000005640: BF800000
	v_mov_b32_e32 v237, 0xff800000                             // 000000005644: 7FDA02FF FF800000
	s_and_b32 s56, s48, 0xff                                   // 00000000564C: 8638FF30 000000FF
	v_mov_b32_e32 v236, s56                                    // 000000005654: 7FD80238
	v_lshrrev_b32_e32 v228, 4, v0                              // 000000005658: 21C80084
	v_mul_i32_i24_e32 v228, 8, v228                            // 00000000565C: 0DC9C888
	v_add_u32_e32 v229, 1, v228                                // 000000005660: 69CBC881
	v_add_u32_e32 v230, 2, v228                                // 000000005664: 69CDC882
	v_add_u32_e32 v231, 3, v228                                // 000000005668: 69CFC883
	v_add_u32_e32 v232, 4, v228                                // 00000000566C: 69D1C884
	v_add_u32_e32 v233, 5, v228                                // 000000005670: 69D3C885
	v_add_u32_e32 v234, 6, v228                                // 000000005674: 69D5C886
	v_add_u32_e32 v235, 7, v228                                // 000000005678: 69D7C887
	v_cmp_lt_u32_e64 s[38:39], v228, v236                      // 00000000567C: D0C90026 0003D9E4
	v_add_u32_e32 v228, 64, v228                               // 000000005684: 69C9C8C0
	s_nop 0                                                    // 000000005688: BF800000
	v_cndmask_b32_e64 v40, v237, v40, s[38:39]                 // 00000000568C: D1000028 009A51ED
	v_cmp_lt_u32_e64 s[38:39], v229, v236                      // 000000005694: D0C90026 0003D9E5
	v_add_u32_e32 v229, 64, v229                               // 00000000569C: 69CBCAC0
	s_nop 0                                                    // 0000000056A0: BF800000
	v_cndmask_b32_e64 v41, v237, v41, s[38:39]                 // 0000000056A4: D1000029 009A53ED
	v_cmp_lt_u32_e64 s[38:39], v230, v236                      // 0000000056AC: D0C90026 0003D9E6
	v_add_u32_e32 v230, 64, v230                               // 0000000056B4: 69CDCCC0
	s_nop 0                                                    // 0000000056B8: BF800000
	v_cndmask_b32_e64 v42, v237, v42, s[38:39]                 // 0000000056BC: D100002A 009A55ED
	v_cmp_lt_u32_e64 s[38:39], v231, v236                      // 0000000056C4: D0C90026 0003D9E7
	v_add_u32_e32 v231, 64, v231                               // 0000000056CC: 69CFCEC0
	s_nop 0                                                    // 0000000056D0: BF800000
	v_cndmask_b32_e64 v43, v237, v43, s[38:39]                 // 0000000056D4: D100002B 009A57ED
	v_cmp_lt_u32_e64 s[38:39], v232, v236                      // 0000000056DC: D0C90026 0003D9E8
	v_add_u32_e32 v232, 64, v232                               // 0000000056E4: 69D1D0C0
	s_nop 0                                                    // 0000000056E8: BF800000
	v_cndmask_b32_e64 v44, v237, v44, s[38:39]                 // 0000000056EC: D100002C 009A59ED
	v_cmp_lt_u32_e64 s[38:39], v233, v236                      // 0000000056F4: D0C90026 0003D9E9
	v_add_u32_e32 v233, 64, v233                               // 0000000056FC: 69D3D2C0
	s_nop 0                                                    // 000000005700: BF800000
	v_cndmask_b32_e64 v45, v237, v45, s[38:39]                 // 000000005704: D100002D 009A5BED
	v_cmp_lt_u32_e64 s[38:39], v234, v236                      // 00000000570C: D0C90026 0003D9EA
	v_add_u32_e32 v234, 64, v234                               // 000000005714: 69D5D4C0
	s_nop 0                                                    // 000000005718: BF800000
	v_cndmask_b32_e64 v46, v237, v46, s[38:39]                 // 00000000571C: D100002E 009A5DED
	v_cmp_lt_u32_e64 s[38:39], v235, v236                      // 000000005724: D0C90026 0003D9EB
	v_add_u32_e32 v235, 64, v235                               // 00000000572C: 69D7D6C0
	s_nop 0                                                    // 000000005730: BF800000
	v_cndmask_b32_e64 v47, v237, v47, s[38:39]                 // 000000005734: D100002F 009A5FED
	v_mov_b32_e32 v22, v16                                     // 00000000573C: 7E2C0310
	v_mov_b32_e32 v23, v16                                     // 000000005740: 7E2E0310
	v_pk_mul_f32 v[52:53], v[22:23], v[52:53]                  // 000000005744: D3B14034 18026916
	v_pk_mul_f32 v[54:55], v[22:23], v[54:55]                  // 00000000574C: D3B14036 18026D16
	v_pk_mul_f32 v[56:57], v[22:23], v[56:57]                  // 000000005754: D3B14038 18027116
	v_pk_mul_f32 v[58:59], v[22:23], v[58:59]                  // 00000000575C: D3B1403A 18027516
	v_pk_mul_f32 v[60:61], v[22:23], v[60:61]                  // 000000005764: D3B1403C 18027916
	v_pk_mul_f32 v[62:63], v[22:23], v[62:63]                  // 00000000576C: D3B1403E 18027D16
	v_pk_mul_f32 v[64:65], v[22:23], v[64:65]                  // 000000005774: D3B14040 18028116
	v_pk_mul_f32 v[66:67], v[22:23], v[66:67]                  // 00000000577C: D3B14042 18028516
	v_pk_mul_f32 v[68:69], v[22:23], v[68:69]                  // 000000005784: D3B14044 18028916
	v_pk_mul_f32 v[70:71], v[22:23], v[70:71]                  // 00000000578C: D3B14046 18028D16
	v_pk_mul_f32 v[72:73], v[22:23], v[72:73]                  // 000000005794: D3B14048 18029116
	v_pk_mul_f32 v[74:75], v[22:23], v[74:75]                  // 00000000579C: D3B1404A 18029516
	v_pk_mul_f32 v[76:77], v[22:23], v[76:77]                  // 0000000057A4: D3B1404C 18029916
	v_pk_mul_f32 v[78:79], v[22:23], v[78:79]                  // 0000000057AC: D3B1404E 18029D16
	v_pk_mul_f32 v[80:81], v[22:23], v[80:81]                  // 0000000057B4: D3B14050 1802A116
	v_pk_mul_f32 v[82:83], v[22:23], v[82:83]                  // 0000000057BC: D3B14052 1802A516
	v_pk_mul_f32 v[84:85], v[22:23], v[84:85]                  // 0000000057C4: D3B14054 1802A916
	v_pk_mul_f32 v[86:87], v[22:23], v[86:87]                  // 0000000057CC: D3B14056 1802AD16
	v_pk_mul_f32 v[88:89], v[22:23], v[88:89]                  // 0000000057D4: D3B14058 1802B116
	v_pk_mul_f32 v[90:91], v[22:23], v[90:91]                  // 0000000057DC: D3B1405A 1802B516
	v_pk_mul_f32 v[92:93], v[22:23], v[92:93]                  // 0000000057E4: D3B1405C 1802B916
	v_pk_mul_f32 v[94:95], v[22:23], v[94:95]                  // 0000000057EC: D3B1405E 1802BD16
	v_pk_mul_f32 v[96:97], v[22:23], v[96:97]                  // 0000000057F4: D3B14060 1802C116
	v_pk_mul_f32 v[98:99], v[22:23], v[98:99]                  // 0000000057FC: D3B14062 1802C516
	v_pk_mul_f32 v[100:101], v[22:23], v[100:101]              // 000000005804: D3B14064 1802C916
	v_pk_mul_f32 v[102:103], v[22:23], v[102:103]              // 00000000580C: D3B14066 1802CD16
	v_pk_mul_f32 v[104:105], v[22:23], v[104:105]              // 000000005814: D3B14068 1802D116
	v_pk_mul_f32 v[106:107], v[22:23], v[106:107]              // 00000000581C: D3B1406A 1802D516
	v_pk_mul_f32 v[108:109], v[22:23], v[108:109]              // 000000005824: D3B1406C 1802D916
	v_pk_mul_f32 v[110:111], v[22:23], v[110:111]              // 00000000582C: D3B1406E 1802DD16
	v_pk_mul_f32 v[112:113], v[22:23], v[112:113]              // 000000005834: D3B14070 1802E116
	v_pk_mul_f32 v[114:115], v[22:23], v[114:115]              // 00000000583C: D3B14072 1802E516
	v_pk_mul_f32 v[116:117], v[22:23], v[116:117]              // 000000005844: D3B14074 1802E916
	v_pk_mul_f32 v[118:119], v[22:23], v[118:119]              // 00000000584C: D3B14076 1802ED16
	v_pk_mul_f32 v[120:121], v[22:23], v[120:121]              // 000000005854: D3B14078 1802F116
	v_pk_mul_f32 v[122:123], v[22:23], v[122:123]              // 00000000585C: D3B1407A 1802F516
	v_pk_mul_f32 v[124:125], v[22:23], v[124:125]              // 000000005864: D3B1407C 1802F916
	v_pk_mul_f32 v[126:127], v[22:23], v[126:127]              // 00000000586C: D3B1407E 1802FD16
	v_pk_mul_f32 v[128:129], v[22:23], v[128:129]              // 000000005874: D3B14080 18030116
	v_pk_mul_f32 v[130:131], v[22:23], v[130:131]              // 00000000587C: D3B14082 18030516
	v_pk_mul_f32 v[132:133], v[22:23], v[132:133]              // 000000005884: D3B14084 18030916
	v_pk_mul_f32 v[134:135], v[22:23], v[134:135]              // 00000000588C: D3B14086 18030D16
	v_pk_mul_f32 v[136:137], v[22:23], v[136:137]              // 000000005894: D3B14088 18031116
	v_pk_mul_f32 v[138:139], v[22:23], v[138:139]              // 00000000589C: D3B1408A 18031516
	v_pk_mul_f32 v[140:141], v[22:23], v[140:141]              // 0000000058A4: D3B1408C 18031916
	v_pk_mul_f32 v[142:143], v[22:23], v[142:143]              // 0000000058AC: D3B1408E 18031D16
	v_pk_mul_f32 v[144:145], v[22:23], v[144:145]              // 0000000058B4: D3B14090 18032116
	v_pk_mul_f32 v[146:147], v[22:23], v[146:147]              // 0000000058BC: D3B14092 18032516
	v_pk_mul_f32 v[148:149], v[22:23], v[148:149]              // 0000000058C4: D3B14094 18032916
	v_pk_mul_f32 v[150:151], v[22:23], v[150:151]              // 0000000058CC: D3B14096 18032D16
	v_pk_mul_f32 v[152:153], v[22:23], v[152:153]              // 0000000058D4: D3B14098 18033116
	v_pk_mul_f32 v[154:155], v[22:23], v[154:155]              // 0000000058DC: D3B1409A 18033516
	v_pk_mul_f32 v[156:157], v[22:23], v[156:157]              // 0000000058E4: D3B1409C 18033916
	v_pk_mul_f32 v[158:159], v[22:23], v[158:159]              // 0000000058EC: D3B1409E 18033D16
	v_pk_mul_f32 v[160:161], v[22:23], v[160:161]              // 0000000058F4: D3B140A0 18034116
	v_pk_mul_f32 v[162:163], v[22:23], v[162:163]              // 0000000058FC: D3B140A2 18034516
	v_pk_mul_f32 v[164:165], v[22:23], v[164:165]              // 000000005904: D3B140A4 18034916
	v_pk_mul_f32 v[166:167], v[22:23], v[166:167]              // 00000000590C: D3B140A6 18034D16
	v_pk_mul_f32 v[168:169], v[22:23], v[168:169]              // 000000005914: D3B140A8 18035116
	v_pk_mul_f32 v[170:171], v[22:23], v[170:171]              // 00000000591C: D3B140AA 18035516
	v_pk_mul_f32 v[172:173], v[22:23], v[172:173]              // 000000005924: D3B140AC 18035916
	v_pk_mul_f32 v[174:175], v[22:23], v[174:175]              // 00000000592C: D3B140AE 18035D16
	v_pk_mul_f32 v[176:177], v[22:23], v[176:177]              // 000000005934: D3B140B0 18036116
	v_pk_mul_f32 v[178:179], v[22:23], v[178:179]              // 00000000593C: D3B140B2 18036516
	v_mul_f32_e32 v14, v16, v14                                // 000000005944: 0A1C1D10
	v_mov_b32_e32 v22, v32                                     // 000000005948: 7E2C0320
	v_add_f32_e32 v22, v33, v22                                // 00000000594C: 022C2D21
	v_add_f32_e32 v22, v34, v22                                // 000000005950: 022C2D22
	v_add_f32_e32 v22, v35, v22                                // 000000005954: 022C2D23
	v_add_f32_e32 v22, v36, v22                                // 000000005958: 022C2D24
	v_add_f32_e32 v22, v37, v22                                // 00000000595C: 022C2D25
	v_add_f32_e32 v22, v38, v22                                // 000000005960: 022C2D26
	v_add_f32_e32 v22, v39, v22                                // 000000005964: 022C2D27
	v_add_f32_e32 v14, v22, v14                                // 000000005968: 021C1D16
	v_mfma_f32_16x16x32_fp8_fp8 v[52:55], a[108:109], v[48:49], v[52:55]// 00000000596C: D3F30034 0CD2616C
	v_mfma_f32_16x16x32_fp8_fp8 v[56:59], a[110:111], v[48:49], v[56:59]// 000000005974: D3F30038 0CE2616E
	v_mfma_f32_16x16x32_fp8_fp8 v[60:63], a[112:113], v[48:49], v[60:63]// 00000000597C: D3F3003C 0CF26170
	v_mfma_f32_16x16x32_fp8_fp8 v[64:67], a[114:115], v[48:49], v[64:67]// 000000005984: D3F30040 0D026172
	v_mfma_f32_16x16x32_fp8_fp8 v[68:71], a[116:117], v[48:49], v[68:71]// 00000000598C: D3F30044 0D126174
	v_mfma_f32_16x16x32_fp8_fp8 v[72:75], a[118:119], v[48:49], v[72:75]// 000000005994: D3F30048 0D226176
	v_mfma_f32_16x16x32_fp8_fp8 v[76:79], a[120:121], v[48:49], v[76:79]// 00000000599C: D3F3004C 0D326178
	v_mfma_f32_16x16x32_fp8_fp8 v[80:83], a[122:123], v[48:49], v[80:83]// 0000000059A4: D3F30050 0D42617A
	v_mfma_f32_16x16x32_fp8_fp8 v[84:87], a[124:125], v[48:49], v[84:87]// 0000000059AC: D3F30054 0D52617C
	v_mfma_f32_16x16x32_fp8_fp8 v[88:91], a[126:127], v[48:49], v[88:91]// 0000000059B4: D3F30058 0D62617E
	v_mfma_f32_16x16x32_fp8_fp8 v[92:95], a[128:129], v[48:49], v[92:95]// 0000000059BC: D3F3005C 0D726180
	v_mfma_f32_16x16x32_fp8_fp8 v[96:99], a[130:131], v[48:49], v[96:99]// 0000000059C4: D3F30060 0D826182
	v_mfma_f32_16x16x32_fp8_fp8 v[100:103], a[132:133], v[48:49], v[100:103]// 0000000059CC: D3F30064 0D926184
	v_mfma_f32_16x16x32_fp8_fp8 v[104:107], a[134:135], v[48:49], v[104:107]// 0000000059D4: D3F30068 0DA26186
	v_mfma_f32_16x16x32_fp8_fp8 v[108:111], a[136:137], v[48:49], v[108:111]// 0000000059DC: D3F3006C 0DB26188
	v_mfma_f32_16x16x32_fp8_fp8 v[112:115], a[138:139], v[48:49], v[112:115]// 0000000059E4: D3F30070 0DC2618A
	v_mfma_f32_16x16x32_fp8_fp8 v[116:119], a[140:141], v[48:49], v[116:119]// 0000000059EC: D3F30074 0DD2618C
	v_mfma_f32_16x16x32_fp8_fp8 v[120:123], a[142:143], v[48:49], v[120:123]// 0000000059F4: D3F30078 0DE2618E
	v_mfma_f32_16x16x32_fp8_fp8 v[124:127], a[144:145], v[48:49], v[124:127]// 0000000059FC: D3F3007C 0DF26190
	v_mfma_f32_16x16x32_fp8_fp8 v[128:131], a[146:147], v[48:49], v[128:131]// 000000005A04: D3F30080 0E026192
	v_mfma_f32_16x16x32_fp8_fp8 v[132:135], a[148:149], v[48:49], v[132:135]// 000000005A0C: D3F30084 0E126194
	v_mfma_f32_16x16x32_fp8_fp8 v[136:139], a[150:151], v[48:49], v[136:139]// 000000005A14: D3F30088 0E226196
	v_mfma_f32_16x16x32_fp8_fp8 v[140:143], a[152:153], v[48:49], v[140:143]// 000000005A1C: D3F3008C 0E326198
	v_mfma_f32_16x16x32_fp8_fp8 v[144:147], a[154:155], v[48:49], v[144:147]// 000000005A24: D3F30090 0E42619A
	v_mfma_f32_16x16x32_fp8_fp8 v[148:151], a[156:157], v[48:49], v[148:151]// 000000005A2C: D3F30094 0E52619C
	v_mfma_f32_16x16x32_fp8_fp8 v[152:155], a[158:159], v[48:49], v[152:155]// 000000005A34: D3F30098 0E62619E
	v_mfma_f32_16x16x32_fp8_fp8 v[156:159], a[160:161], v[48:49], v[156:159]// 000000005A3C: D3F3009C 0E7261A0
	v_mfma_f32_16x16x32_fp8_fp8 v[160:163], a[162:163], v[48:49], v[160:163]// 000000005A44: D3F300A0 0E8261A2
	v_mfma_f32_16x16x32_fp8_fp8 v[164:167], a[164:165], v[48:49], v[164:167]// 000000005A4C: D3F300A4 0E9261A4
	v_mfma_f32_16x16x32_fp8_fp8 v[168:171], a[166:167], v[48:49], v[168:171]// 000000005A54: D3F300A8 0EA261A6
	v_mfma_f32_16x16x32_fp8_fp8 v[172:175], a[168:169], v[48:49], v[172:175]// 000000005A5C: D3F300AC 0EB261A8
	v_mfma_f32_16x16x32_fp8_fp8 v[176:179], a[170:171], v[48:49], v[176:179]// 000000005A64: D3F300B0 0EC261AA
	s_nop 8                                                    // 000000005A6C: BF800008
	s_branch label_0DDD                                        // 000000005A70: BF820000

0000000000005a74 <label_0DDD>:
	ds_write_b32 v3, v14 offset:55808                          // 000000005A74: D81ADA00 00000E03
	ds_write_b32 v3, v15 offset:56832                          // 000000005A7C: D81ADE00 00000F03
	s_waitcnt lgkmcnt(0)                                       // 000000005A84: BF8CC07F
	ds_read_b32 v20, v2 offset:55808                           // 000000005A88: D86CDA00 14000002
	ds_read_b32 v21, v2 offset:55872                           // 000000005A90: D86CDA40 15000002
	ds_read_b32 v22, v2 offset:55936                           // 000000005A98: D86CDA80 16000002
	ds_read_b32 v23, v2 offset:56000                           // 000000005AA0: D86CDAC0 17000002
	ds_read_b32 v24, v2 offset:56832                           // 000000005AA8: D86CDE00 18000002
	ds_read_b32 v25, v2 offset:56896                           // 000000005AB0: D86CDE40 19000002
	ds_read_b32 v26, v2 offset:56960                           // 000000005AB8: D86CDE80 1A000002
	ds_read_b32 v27, v2 offset:57024                           // 000000005AC0: D86CDEC0 1B000002
	s_waitcnt lgkmcnt(0)                                       // 000000005AC8: BF8CC07F
	v_mov_b32_e32 v14, 0                                       // 000000005ACC: 7E1C0280
	v_mov_b32_e32 v15, 0                                       // 000000005AD0: 7E1E0280
	v_add_f32_e32 v14, v20, v14                                // 000000005AD4: 021C1D14
	v_add_f32_e32 v15, v24, v15                                // 000000005AD8: 021E1F18
	v_add_f32_e32 v14, v21, v14                                // 000000005ADC: 021C1D15
	v_add_f32_e32 v15, v25, v15                                // 000000005AE0: 021E1F19
	v_add_f32_e32 v14, v22, v14                                // 000000005AE4: 021C1D16
	v_add_f32_e32 v15, v26, v15                                // 000000005AE8: 021E1F1A
	v_add_f32_e32 v14, v23, v14                                // 000000005AEC: 021C1D17
	v_add_f32_e32 v15, v27, v15                                // 000000005AF0: 021E1F1B
	v_mov_b32_e32 v20, 0                                       // 000000005AF4: 7E280280
	v_cmp_eq_u32_e64 s[38:39], v20, v14                        // 000000005AF8: D0CA0026 00021D14
	v_cmp_eq_u32_e64 s[40:41], v20, v15                        // 000000005B00: D0CA0028 00021F14
	v_mul_f32_e64 v20, v12, s64                                // 000000005B08: D1050014 0000810C
	v_mul_f32_e64 v22, v13, s64                                // 000000005B10: D1050016 0000810D
	v_log_f32_e32 v21, v14                                     // 000000005B18: 7E2A430E
	v_log_f32_e32 v23, v15                                     // 000000005B1C: 7E2E430F
	v_cndmask_b32_e64 v14, v14, 1.0, s[38:39]                  // 000000005B20: D100000E 0099E50E
	v_cndmask_b32_e64 v15, v15, 1.0, s[40:41]                  // 000000005B28: D100000F 00A1E50F
	s_nop 1                                                    // 000000005B30: BF800001
	v_rcp_f32_e32 v14, v14                                     // 000000005B34: 7E1C450E
	v_rcp_f32_e32 v15, v15                                     // 000000005B38: 7E1E450F
	s_nop 1                                                    // 000000005B3C: BF800001
	v_fma_f32 v24, v21, s63, v20                               // 000000005B40: D1CB0018 04507F15
	v_fma_f32 v25, v23, s63, v22                               // 000000005B48: D1CB0019 04587F17
	v_mul_f32_e32 v52, v14, v52                                // 000000005B50: 0A68690E
	v_mul_f32_e32 v53, v14, v53                                // 000000005B54: 0A6A6B0E
	v_mul_f32_e32 v54, v14, v54                                // 000000005B58: 0A6C6D0E
	v_mul_f32_e32 v55, v14, v55                                // 000000005B5C: 0A6E6F0E
	v_mul_f32_e32 v56, v14, v56                                // 000000005B60: 0A70710E
	v_mul_f32_e32 v57, v14, v57                                // 000000005B64: 0A72730E
	v_mul_f32_e32 v58, v14, v58                                // 000000005B68: 0A74750E
	v_mul_f32_e32 v59, v14, v59                                // 000000005B6C: 0A76770E
	v_mul_f32_e32 v60, v14, v60                                // 000000005B70: 0A78790E
	v_mul_f32_e32 v61, v14, v61                                // 000000005B74: 0A7A7B0E
	v_mul_f32_e32 v62, v14, v62                                // 000000005B78: 0A7C7D0E
	v_mul_f32_e32 v63, v14, v63                                // 000000005B7C: 0A7E7F0E
	v_mul_f32_e32 v64, v14, v64                                // 000000005B80: 0A80810E
	v_mul_f32_e32 v65, v14, v65                                // 000000005B84: 0A82830E
	v_mul_f32_e32 v66, v14, v66                                // 000000005B88: 0A84850E
	v_mul_f32_e32 v67, v14, v67                                // 000000005B8C: 0A86870E
	v_mul_f32_e32 v68, v14, v68                                // 000000005B90: 0A88890E
	v_mul_f32_e32 v69, v14, v69                                // 000000005B94: 0A8A8B0E
	v_mul_f32_e32 v70, v14, v70                                // 000000005B98: 0A8C8D0E
	v_mul_f32_e32 v71, v14, v71                                // 000000005B9C: 0A8E8F0E
	v_mul_f32_e32 v72, v14, v72                                // 000000005BA0: 0A90910E
	v_mul_f32_e32 v73, v14, v73                                // 000000005BA4: 0A92930E
	v_mul_f32_e32 v74, v14, v74                                // 000000005BA8: 0A94950E
	v_mul_f32_e32 v75, v14, v75                                // 000000005BAC: 0A96970E
	v_mul_f32_e32 v76, v14, v76                                // 000000005BB0: 0A98990E
	v_mul_f32_e32 v77, v14, v77                                // 000000005BB4: 0A9A9B0E
	v_mul_f32_e32 v78, v14, v78                                // 000000005BB8: 0A9C9D0E
	v_mul_f32_e32 v79, v14, v79                                // 000000005BBC: 0A9E9F0E
	v_mul_f32_e32 v80, v14, v80                                // 000000005BC0: 0AA0A10E
	v_mul_f32_e32 v81, v14, v81                                // 000000005BC4: 0AA2A30E
	v_mul_f32_e32 v82, v14, v82                                // 000000005BC8: 0AA4A50E
	v_mul_f32_e32 v83, v14, v83                                // 000000005BCC: 0AA6A70E
	v_mul_f32_e32 v84, v14, v84                                // 000000005BD0: 0AA8A90E
	v_mul_f32_e32 v85, v14, v85                                // 000000005BD4: 0AAAAB0E
	v_mul_f32_e32 v86, v14, v86                                // 000000005BD8: 0AACAD0E
	v_mul_f32_e32 v87, v14, v87                                // 000000005BDC: 0AAEAF0E
	v_mul_f32_e32 v88, v14, v88                                // 000000005BE0: 0AB0B10E
	v_mul_f32_e32 v89, v14, v89                                // 000000005BE4: 0AB2B30E
	v_mul_f32_e32 v90, v14, v90                                // 000000005BE8: 0AB4B50E
	v_mul_f32_e32 v91, v14, v91                                // 000000005BEC: 0AB6B70E
	v_mul_f32_e32 v92, v14, v92                                // 000000005BF0: 0AB8B90E
	v_mul_f32_e32 v93, v14, v93                                // 000000005BF4: 0ABABB0E
	v_mul_f32_e32 v94, v14, v94                                // 000000005BF8: 0ABCBD0E
	v_mul_f32_e32 v95, v14, v95                                // 000000005BFC: 0ABEBF0E
	v_mul_f32_e32 v96, v14, v96                                // 000000005C00: 0AC0C10E
	v_mul_f32_e32 v97, v14, v97                                // 000000005C04: 0AC2C30E
	v_mul_f32_e32 v98, v14, v98                                // 000000005C08: 0AC4C50E
	v_mul_f32_e32 v99, v14, v99                                // 000000005C0C: 0AC6C70E
	v_mul_f32_e32 v100, v14, v100                              // 000000005C10: 0AC8C90E
	v_mul_f32_e32 v101, v14, v101                              // 000000005C14: 0ACACB0E
	v_mul_f32_e32 v102, v14, v102                              // 000000005C18: 0ACCCD0E
	v_mul_f32_e32 v103, v14, v103                              // 000000005C1C: 0ACECF0E
	v_mul_f32_e32 v104, v14, v104                              // 000000005C20: 0AD0D10E
	v_mul_f32_e32 v105, v14, v105                              // 000000005C24: 0AD2D30E
	v_mul_f32_e32 v106, v14, v106                              // 000000005C28: 0AD4D50E
	v_mul_f32_e32 v107, v14, v107                              // 000000005C2C: 0AD6D70E
	v_mul_f32_e32 v108, v14, v108                              // 000000005C30: 0AD8D90E
	v_mul_f32_e32 v109, v14, v109                              // 000000005C34: 0ADADB0E
	v_mul_f32_e32 v110, v14, v110                              // 000000005C38: 0ADCDD0E
	v_mul_f32_e32 v111, v14, v111                              // 000000005C3C: 0ADEDF0E
	v_mul_f32_e32 v112, v14, v112                              // 000000005C40: 0AE0E10E
	v_mul_f32_e32 v113, v14, v113                              // 000000005C44: 0AE2E30E
	v_mul_f32_e32 v114, v14, v114                              // 000000005C48: 0AE4E50E
	v_mul_f32_e32 v115, v14, v115                              // 000000005C4C: 0AE6E70E
	v_mul_f32_e32 v116, v14, v116                              // 000000005C50: 0AE8E90E
	v_mul_f32_e32 v117, v14, v117                              // 000000005C54: 0AEAEB0E
	v_mul_f32_e32 v118, v14, v118                              // 000000005C58: 0AECED0E
	v_mul_f32_e32 v119, v14, v119                              // 000000005C5C: 0AEEEF0E
	v_mul_f32_e32 v120, v14, v120                              // 000000005C60: 0AF0F10E
	v_mul_f32_e32 v121, v14, v121                              // 000000005C64: 0AF2F30E
	v_mul_f32_e32 v122, v14, v122                              // 000000005C68: 0AF4F50E
	v_mul_f32_e32 v123, v14, v123                              // 000000005C6C: 0AF6F70E
	v_mul_f32_e32 v124, v14, v124                              // 000000005C70: 0AF8F90E
	v_mul_f32_e32 v125, v14, v125                              // 000000005C74: 0AFAFB0E
	v_mul_f32_e32 v126, v14, v126                              // 000000005C78: 0AFCFD0E
	v_mul_f32_e32 v127, v14, v127                              // 000000005C7C: 0AFEFF0E
	v_mul_f32_e32 v128, v14, v128                              // 000000005C80: 0B01010E
	v_mul_f32_e32 v129, v14, v129                              // 000000005C84: 0B03030E
	v_mul_f32_e32 v130, v14, v130                              // 000000005C88: 0B05050E
	v_mul_f32_e32 v131, v14, v131                              // 000000005C8C: 0B07070E
	v_mul_f32_e32 v132, v14, v132                              // 000000005C90: 0B09090E
	v_mul_f32_e32 v133, v14, v133                              // 000000005C94: 0B0B0B0E
	v_mul_f32_e32 v134, v14, v134                              // 000000005C98: 0B0D0D0E
	v_mul_f32_e32 v135, v14, v135                              // 000000005C9C: 0B0F0F0E
	v_mul_f32_e32 v136, v14, v136                              // 000000005CA0: 0B11110E
	v_mul_f32_e32 v137, v14, v137                              // 000000005CA4: 0B13130E
	v_mul_f32_e32 v138, v14, v138                              // 000000005CA8: 0B15150E
	v_mul_f32_e32 v139, v14, v139                              // 000000005CAC: 0B17170E
	v_mul_f32_e32 v140, v14, v140                              // 000000005CB0: 0B19190E
	v_mul_f32_e32 v141, v14, v141                              // 000000005CB4: 0B1B1B0E
	v_mul_f32_e32 v142, v14, v142                              // 000000005CB8: 0B1D1D0E
	v_mul_f32_e32 v143, v14, v143                              // 000000005CBC: 0B1F1F0E
	v_mul_f32_e32 v144, v14, v144                              // 000000005CC0: 0B21210E
	v_mul_f32_e32 v145, v14, v145                              // 000000005CC4: 0B23230E
	v_mul_f32_e32 v146, v14, v146                              // 000000005CC8: 0B25250E
	v_mul_f32_e32 v147, v14, v147                              // 000000005CCC: 0B27270E
	v_mul_f32_e32 v148, v14, v148                              // 000000005CD0: 0B29290E
	v_mul_f32_e32 v149, v14, v149                              // 000000005CD4: 0B2B2B0E
	v_mul_f32_e32 v150, v14, v150                              // 000000005CD8: 0B2D2D0E
	v_mul_f32_e32 v151, v14, v151                              // 000000005CDC: 0B2F2F0E
	v_mul_f32_e32 v152, v14, v152                              // 000000005CE0: 0B31310E
	v_mul_f32_e32 v153, v14, v153                              // 000000005CE4: 0B33330E
	v_mul_f32_e32 v154, v14, v154                              // 000000005CE8: 0B35350E
	v_mul_f32_e32 v155, v14, v155                              // 000000005CEC: 0B37370E
	v_mul_f32_e32 v156, v14, v156                              // 000000005CF0: 0B39390E
	v_mul_f32_e32 v157, v14, v157                              // 000000005CF4: 0B3B3B0E
	v_mul_f32_e32 v158, v14, v158                              // 000000005CF8: 0B3D3D0E
	v_mul_f32_e32 v159, v14, v159                              // 000000005CFC: 0B3F3F0E
	v_mul_f32_e32 v160, v14, v160                              // 000000005D00: 0B41410E
	v_mul_f32_e32 v161, v14, v161                              // 000000005D04: 0B43430E
	v_mul_f32_e32 v162, v14, v162                              // 000000005D08: 0B45450E
	v_mul_f32_e32 v163, v14, v163                              // 000000005D0C: 0B47470E
	v_mul_f32_e32 v164, v14, v164                              // 000000005D10: 0B49490E
	v_mul_f32_e32 v165, v14, v165                              // 000000005D14: 0B4B4B0E
	v_mul_f32_e32 v166, v14, v166                              // 000000005D18: 0B4D4D0E
	v_mul_f32_e32 v167, v14, v167                              // 000000005D1C: 0B4F4F0E
	v_mul_f32_e32 v168, v14, v168                              // 000000005D20: 0B51510E
	v_mul_f32_e32 v169, v14, v169                              // 000000005D24: 0B53530E
	v_mul_f32_e32 v170, v14, v170                              // 000000005D28: 0B55550E
	v_mul_f32_e32 v171, v14, v171                              // 000000005D2C: 0B57570E
	v_mul_f32_e32 v172, v14, v172                              // 000000005D30: 0B59590E
	v_mul_f32_e32 v173, v14, v173                              // 000000005D34: 0B5B5B0E
	v_mul_f32_e32 v174, v14, v174                              // 000000005D38: 0B5D5D0E
	v_mul_f32_e32 v175, v14, v175                              // 000000005D3C: 0B5F5F0E
	v_mul_f32_e32 v176, v14, v176                              // 000000005D40: 0B61610E
	v_mul_f32_e32 v177, v14, v177                              // 000000005D44: 0B63630E
	v_mul_f32_e32 v178, v14, v178                              // 000000005D48: 0B65650E
	v_mul_f32_e32 v179, v14, v179                              // 000000005D4C: 0B67670E
	s_cmp_lt_i32 s87, 0                                        // 000000005D50: BF048057
	s_cbranch_scc0 label_1389                                  // 000000005D54: BF8404F3
	s_mov_b32 s75, 0x4000                                      // 000000005D58: BECB00FF 00004000
	s_mul_i32 s56, s75, s78                                    // 000000005D60: 92384E4B
	s_add_u32 s88, s56, s88                                    // 000000005D64: 80585838
	s_addc_u32 s89, 0, s89                                     // 000000005D68: 82595980
	s_sub_u32 s56, s81, s80                                    // 000000005D6C: 80B85051
	s_mul_i32 s56, s56, s75                                    // 000000005D70: 92384B38
	s_mov_b32 s90, s56                                         // 000000005D74: BEDA0038
	v_and_b32_e32 v20, 7, v0                                   // 000000005D78: 26280087
	v_lshlrev_b32_e32 v18, 4, v20                              // 000000005D7C: 24242884
	v_lshrrev_b32_e32 v20, 3, v0                               // 000000005D80: 20280083
	v_mul_i32_i24_e32 v20, 0x400, v20                          // 000000005D84: 0C2828FF 00000400
	s_mul_i32 s57, s75, s7                                     // 000000005D8C: 9239074B
	v_add_u32_e32 v20, s57, v20                                // 000000005D90: 68282839
	v_add_u32_e32 v18, v18, v20                                // 000000005D94: 68242912
	v_mov_b32_e32 v19, v18                                     // 000000005D98: 7E260312
	s_waitcnt vmcnt(0) lgkmcnt(0)                              // 000000005D9C: BF8C0070
	s_barrier                                                  // 000000005DA0: BF8A0000
	s_mul_i32 s75, 0x400, s65                                  // 000000005DA4: 924B41FF 00000400
	s_mul_i32 s76, s67, s75                                    // 000000005DAC: 924C4B43
	v_lshrrev_b32_e32 v20, 4, v0                               // 000000005DB0: 20280084
	v_mul_i32_i24_e32 v5, 0x48, v20                            // 000000005DB4: 0C0A28FF 00000048
	v_and_b32_e32 v20, 15, v0                                  // 000000005DBC: 2628008F
	v_mul_i32_i24_e32 v20, 2, v20                              // 000000005DC0: 0C282882
	v_add_u32_e32 v5, v20, v5                                  // 000000005DC4: 680A0B14
	s_mul_i32 s56, s7, 0x480                                   // 000000005DC8: 9238FF07 00000480
	v_add_u32_e32 v5, s56, v5                                  // 000000005DD0: 680A0A38
	v_lshlrev_b32_e32 v5, 2, v5                                // 000000005DD4: 240A0A82
	v_lshrrev_b32_e32 v20, 3, v0                               // 000000005DD8: 20280083
	v_mul_i32_i24_e32 v4, 2, v20                               // 000000005DDC: 0C082882
	v_and_b32_e32 v20, 7, v0                                   // 000000005DE0: 26280087
	v_mul_i32_i24_e32 v20, 36, v20                             // 000000005DE4: 0C2828A4
	v_add_u32_e32 v4, v20, v4                                  // 000000005DE8: 68080914
	s_mul_i32 s56, s7, 0x480                                   // 000000005DEC: 9238FF07 00000480
	v_add_u32_e32 v4, s56, v4                                  // 000000005DF4: 68080838
	v_lshlrev_b32_e32 v4, 2, v4                                // 000000005DF8: 24080882
	v_mov_b32_e32 v29, 0xffff0000                              // 000000005DFC: 7E3A02FF FFFF0000
	v_mov_b32_e32 v30, 0x7fff0000                              // 000000005E04: 7E3C02FF 7FFF0000
	v_mov_b32_e32 v31, 0x7fff                                  // 000000005E0C: 7E3E02FF 00007FFF
	s_mul_i32 s56, 0, s76                                      // 000000005E14: 92384C80
	v_add_u32_e64 v19, v19, s56                                // 000000005E18: D1340013 00007113
	v_mov_b32_e32 v24, v52                                     // 000000005E20: 7E300334
	v_mov_b32_e32 v25, v56                                     // 000000005E24: 7E320338
	v_mov_b32_e32 v26, v60                                     // 000000005E28: 7E34033C
	v_mov_b32_e32 v27, v64                                     // 000000005E2C: 7E360340
	v_cmp_u_f32_e64 s[38:39], v24, v24                         // 000000005E30: D0480026 00023118
	v_add3_u32 v28, v24, v31, 1                                // 000000005E38: D1FF001C 02063F18
	v_cndmask_b32_e64 v20, v28, v30, s[38:39]                  // 000000005E40: D1000014 009A3D1C
	v_cmp_u_f32_e64 s[38:39], v25, v25                         // 000000005E48: D0480026 00023319
	v_add3_u32 v28, v25, v31, 1                                // 000000005E50: D1FF001C 02063F19
	v_cndmask_b32_e64 v21, v28, v30, s[38:39]                  // 000000005E58: D1000015 009A3D1C
	v_perm_b32 v24, v21, v20, s51                              // 000000005E60: D1ED0018 00CE2915
	v_cmp_u_f32_e64 s[38:39], v26, v26                         // 000000005E68: D0480026 0002351A
	v_add3_u32 v28, v26, v31, 1                                // 000000005E70: D1FF001C 02063F1A
	v_cndmask_b32_e64 v20, v28, v30, s[38:39]                  // 000000005E78: D1000014 009A3D1C
	v_cmp_u_f32_e64 s[38:39], v27, v27                         // 000000005E80: D0480026 0002371B
	v_add3_u32 v28, v27, v31, 1                                // 000000005E88: D1FF001C 02063F1B
	v_cndmask_b32_e64 v21, v28, v30, s[38:39]                  // 000000005E90: D1000015 009A3D1C
	v_perm_b32 v25, v21, v20, s51                              // 000000005E98: D1ED0019 00CE2915
	ds_write_b64 v5, v[24:25]                                  // 000000005EA0: D89A0000 00001805
	v_mov_b32_e32 v24, v53                                     // 000000005EA8: 7E300335
	v_mov_b32_e32 v25, v57                                     // 000000005EAC: 7E320339
	v_mov_b32_e32 v26, v61                                     // 000000005EB0: 7E34033D
	v_mov_b32_e32 v27, v65                                     // 000000005EB4: 7E360341
	v_cmp_u_f32_e64 s[38:39], v24, v24                         // 000000005EB8: D0480026 00023118
	v_add3_u32 v28, v24, v31, 1                                // 000000005EC0: D1FF001C 02063F18
	v_cndmask_b32_e64 v20, v28, v30, s[38:39]                  // 000000005EC8: D1000014 009A3D1C
	v_cmp_u_f32_e64 s[38:39], v25, v25                         // 000000005ED0: D0480026 00023319
	v_add3_u32 v28, v25, v31, 1                                // 000000005ED8: D1FF001C 02063F19
	v_cndmask_b32_e64 v21, v28, v30, s[38:39]                  // 000000005EE0: D1000015 009A3D1C
	v_perm_b32 v24, v21, v20, s51                              // 000000005EE8: D1ED0018 00CE2915
	v_cmp_u_f32_e64 s[38:39], v26, v26                         // 000000005EF0: D0480026 0002351A
	v_add3_u32 v28, v26, v31, 1                                // 000000005EF8: D1FF001C 02063F1A
	v_cndmask_b32_e64 v20, v28, v30, s[38:39]                  // 000000005F00: D1000014 009A3D1C
	v_cmp_u_f32_e64 s[38:39], v27, v27                         // 000000005F08: D0480026 0002371B
	v_add3_u32 v28, v27, v31, 1                                // 000000005F10: D1FF001C 02063F1B
	v_cndmask_b32_e64 v21, v28, v30, s[38:39]                  // 000000005F18: D1000015 009A3D1C
	v_perm_b32 v25, v21, v20, s51                              // 000000005F20: D1ED0019 00CE2915
	ds_write_b64 v5, v[24:25] offset:1152                      // 000000005F28: D89A0480 00001805
	v_mov_b32_e32 v24, v54                                     // 000000005F30: 7E300336
	v_mov_b32_e32 v25, v58                                     // 000000005F34: 7E32033A
	v_mov_b32_e32 v26, v62                                     // 000000005F38: 7E34033E
	v_mov_b32_e32 v27, v66                                     // 000000005F3C: 7E360342
	v_cmp_u_f32_e64 s[38:39], v24, v24                         // 000000005F40: D0480026 00023118
	v_add3_u32 v28, v24, v31, 1                                // 000000005F48: D1FF001C 02063F18
	v_cndmask_b32_e64 v20, v28, v30, s[38:39]                  // 000000005F50: D1000014 009A3D1C
	v_cmp_u_f32_e64 s[38:39], v25, v25                         // 000000005F58: D0480026 00023319
	v_add3_u32 v28, v25, v31, 1                                // 000000005F60: D1FF001C 02063F19
	v_cndmask_b32_e64 v21, v28, v30, s[38:39]                  // 000000005F68: D1000015 009A3D1C
	v_perm_b32 v24, v21, v20, s51                              // 000000005F70: D1ED0018 00CE2915
	v_cmp_u_f32_e64 s[38:39], v26, v26                         // 000000005F78: D0480026 0002351A
	v_add3_u32 v28, v26, v31, 1                                // 000000005F80: D1FF001C 02063F1A
	v_cndmask_b32_e64 v20, v28, v30, s[38:39]                  // 000000005F88: D1000014 009A3D1C
	v_cmp_u_f32_e64 s[38:39], v27, v27                         // 000000005F90: D0480026 0002371B
	v_add3_u32 v28, v27, v31, 1                                // 000000005F98: D1FF001C 02063F1B
	v_cndmask_b32_e64 v21, v28, v30, s[38:39]                  // 000000005FA0: D1000015 009A3D1C
	v_perm_b32 v25, v21, v20, s51                              // 000000005FA8: D1ED0019 00CE2915
	ds_write_b64 v5, v[24:25] offset:144                       // 000000005FB0: D89A0090 00001805
	v_mov_b32_e32 v24, v55                                     // 000000005FB8: 7E300337
	v_mov_b32_e32 v25, v59                                     // 000000005FBC: 7E32033B
	v_mov_b32_e32 v26, v63                                     // 000000005FC0: 7E34033F
	v_mov_b32_e32 v27, v67                                     // 000000005FC4: 7E360343
	v_cmp_u_f32_e64 s[38:39], v24, v24                         // 000000005FC8: D0480026 00023118
	v_add3_u32 v28, v24, v31, 1                                // 000000005FD0: D1FF001C 02063F18
	v_cndmask_b32_e64 v20, v28, v30, s[38:39]                  // 000000005FD8: D1000014 009A3D1C
	v_cmp_u_f32_e64 s[38:39], v25, v25                         // 000000005FE0: D0480026 00023319
	v_add3_u32 v28, v25, v31, 1                                // 000000005FE8: D1FF001C 02063F19
	v_cndmask_b32_e64 v21, v28, v30, s[38:39]                  // 000000005FF0: D1000015 009A3D1C
	v_perm_b32 v24, v21, v20, s51                              // 000000005FF8: D1ED0018 00CE2915
	v_cmp_u_f32_e64 s[38:39], v26, v26                         // 000000006000: D0480026 0002351A
	v_add3_u32 v28, v26, v31, 1                                // 000000006008: D1FF001C 02063F1A
	v_cndmask_b32_e64 v20, v28, v30, s[38:39]                  // 000000006010: D1000014 009A3D1C
	v_cmp_u_f32_e64 s[38:39], v27, v27                         // 000000006018: D0480026 0002371B
	v_add3_u32 v28, v27, v31, 1                                // 000000006020: D1FF001C 02063F1B
	v_cndmask_b32_e64 v21, v28, v30, s[38:39]                  // 000000006028: D1000015 009A3D1C
	v_perm_b32 v25, v21, v20, s51                              // 000000006030: D1ED0019 00CE2915
	ds_write_b64 v5, v[24:25] offset:1296                      // 000000006038: D89A0510 00001805
	v_mov_b32_e32 v24, v68                                     // 000000006040: 7E300344
	v_mov_b32_e32 v25, v72                                     // 000000006044: 7E320348
	v_mov_b32_e32 v26, v76                                     // 000000006048: 7E34034C
	v_mov_b32_e32 v27, v80                                     // 00000000604C: 7E360350
	v_cmp_u_f32_e64 s[38:39], v24, v24                         // 000000006050: D0480026 00023118
	v_add3_u32 v28, v24, v31, 1                                // 000000006058: D1FF001C 02063F18
	v_cndmask_b32_e64 v20, v28, v30, s[38:39]                  // 000000006060: D1000014 009A3D1C
	v_cmp_u_f32_e64 s[38:39], v25, v25                         // 000000006068: D0480026 00023319
	v_add3_u32 v28, v25, v31, 1                                // 000000006070: D1FF001C 02063F19
	v_cndmask_b32_e64 v21, v28, v30, s[38:39]                  // 000000006078: D1000015 009A3D1C
	v_perm_b32 v24, v21, v20, s51                              // 000000006080: D1ED0018 00CE2915
	v_cmp_u_f32_e64 s[38:39], v26, v26                         // 000000006088: D0480026 0002351A
	v_add3_u32 v28, v26, v31, 1                                // 000000006090: D1FF001C 02063F1A
	v_cndmask_b32_e64 v20, v28, v30, s[38:39]                  // 000000006098: D1000014 009A3D1C
	v_cmp_u_f32_e64 s[38:39], v27, v27                         // 0000000060A0: D0480026 0002371B
	v_add3_u32 v28, v27, v31, 1                                // 0000000060A8: D1FF001C 02063F1B
	v_cndmask_b32_e64 v21, v28, v30, s[38:39]                  // 0000000060B0: D1000015 009A3D1C
	v_perm_b32 v25, v21, v20, s51                              // 0000000060B8: D1ED0019 00CE2915
	ds_write_b64 v5, v[24:25] offset:2304                      // 0000000060C0: D89A0900 00001805
	v_mov_b32_e32 v24, v69                                     // 0000000060C8: 7E300345
	v_mov_b32_e32 v25, v73                                     // 0000000060CC: 7E320349
	v_mov_b32_e32 v26, v77                                     // 0000000060D0: 7E34034D
	v_mov_b32_e32 v27, v81                                     // 0000000060D4: 7E360351
	v_cmp_u_f32_e64 s[38:39], v24, v24                         // 0000000060D8: D0480026 00023118
	v_add3_u32 v28, v24, v31, 1                                // 0000000060E0: D1FF001C 02063F18
	v_cndmask_b32_e64 v20, v28, v30, s[38:39]                  // 0000000060E8: D1000014 009A3D1C
	v_cmp_u_f32_e64 s[38:39], v25, v25                         // 0000000060F0: D0480026 00023319
	v_add3_u32 v28, v25, v31, 1                                // 0000000060F8: D1FF001C 02063F19
	v_cndmask_b32_e64 v21, v28, v30, s[38:39]                  // 000000006100: D1000015 009A3D1C
	v_perm_b32 v24, v21, v20, s51                              // 000000006108: D1ED0018 00CE2915
	v_cmp_u_f32_e64 s[38:39], v26, v26                         // 000000006110: D0480026 0002351A
	v_add3_u32 v28, v26, v31, 1                                // 000000006118: D1FF001C 02063F1A
	v_cndmask_b32_e64 v20, v28, v30, s[38:39]                  // 000000006120: D1000014 009A3D1C
	v_cmp_u_f32_e64 s[38:39], v27, v27                         // 000000006128: D0480026 0002371B
	v_add3_u32 v28, v27, v31, 1                                // 000000006130: D1FF001C 02063F1B
	v_cndmask_b32_e64 v21, v28, v30, s[38:39]                  // 000000006138: D1000015 009A3D1C
	v_perm_b32 v25, v21, v20, s51                              // 000000006140: D1ED0019 00CE2915
	ds_write_b64 v5, v[24:25] offset:3456                      // 000000006148: D89A0D80 00001805
	v_mov_b32_e32 v24, v70                                     // 000000006150: 7E300346
	v_mov_b32_e32 v25, v74                                     // 000000006154: 7E32034A
	v_mov_b32_e32 v26, v78                                     // 000000006158: 7E34034E
	v_mov_b32_e32 v27, v82                                     // 00000000615C: 7E360352
	v_cmp_u_f32_e64 s[38:39], v24, v24                         // 000000006160: D0480026 00023118
	v_add3_u32 v28, v24, v31, 1                                // 000000006168: D1FF001C 02063F18
	v_cndmask_b32_e64 v20, v28, v30, s[38:39]                  // 000000006170: D1000014 009A3D1C
	v_cmp_u_f32_e64 s[38:39], v25, v25                         // 000000006178: D0480026 00023319
	v_add3_u32 v28, v25, v31, 1                                // 000000006180: D1FF001C 02063F19
	v_cndmask_b32_e64 v21, v28, v30, s[38:39]                  // 000000006188: D1000015 009A3D1C
	v_perm_b32 v24, v21, v20, s51                              // 000000006190: D1ED0018 00CE2915
	v_cmp_u_f32_e64 s[38:39], v26, v26                         // 000000006198: D0480026 0002351A
	v_add3_u32 v28, v26, v31, 1                                // 0000000061A0: D1FF001C 02063F1A
	v_cndmask_b32_e64 v20, v28, v30, s[38:39]                  // 0000000061A8: D1000014 009A3D1C
	v_cmp_u_f32_e64 s[38:39], v27, v27                         // 0000000061B0: D0480026 0002371B
	v_add3_u32 v28, v27, v31, 1                                // 0000000061B8: D1FF001C 02063F1B
	v_cndmask_b32_e64 v21, v28, v30, s[38:39]                  // 0000000061C0: D1000015 009A3D1C
	v_perm_b32 v25, v21, v20, s51                              // 0000000061C8: D1ED0019 00CE2915
	ds_write_b64 v5, v[24:25] offset:2448                      // 0000000061D0: D89A0990 00001805
	v_mov_b32_e32 v24, v71                                     // 0000000061D8: 7E300347
	v_mov_b32_e32 v25, v75                                     // 0000000061DC: 7E32034B
	v_mov_b32_e32 v26, v79                                     // 0000000061E0: 7E34034F
	v_mov_b32_e32 v27, v83                                     // 0000000061E4: 7E360353
	v_cmp_u_f32_e64 s[38:39], v24, v24                         // 0000000061E8: D0480026 00023118
	v_add3_u32 v28, v24, v31, 1                                // 0000000061F0: D1FF001C 02063F18
	v_cndmask_b32_e64 v20, v28, v30, s[38:39]                  // 0000000061F8: D1000014 009A3D1C
	v_cmp_u_f32_e64 s[38:39], v25, v25                         // 000000006200: D0480026 00023319
	v_add3_u32 v28, v25, v31, 1                                // 000000006208: D1FF001C 02063F19
	v_cndmask_b32_e64 v21, v28, v30, s[38:39]                  // 000000006210: D1000015 009A3D1C
	v_perm_b32 v24, v21, v20, s51                              // 000000006218: D1ED0018 00CE2915
	v_cmp_u_f32_e64 s[38:39], v26, v26                         // 000000006220: D0480026 0002351A
	v_add3_u32 v28, v26, v31, 1                                // 000000006228: D1FF001C 02063F1A
	v_cndmask_b32_e64 v20, v28, v30, s[38:39]                  // 000000006230: D1000014 009A3D1C
	v_cmp_u_f32_e64 s[38:39], v27, v27                         // 000000006238: D0480026 0002371B
	v_add3_u32 v28, v27, v31, 1                                // 000000006240: D1FF001C 02063F1B
	v_cndmask_b32_e64 v21, v28, v30, s[38:39]                  // 000000006248: D1000015 009A3D1C
	v_perm_b32 v25, v21, v20, s51                              // 000000006250: D1ED0019 00CE2915
	ds_write_b64 v5, v[24:25] offset:3600                      // 000000006258: D89A0E10 00001805
	s_waitcnt lgkmcnt(4)                                       // 000000006260: BF8CC47F
	ds_read_b64 v[52:53], v4                                   // 000000006264: D8EC0000 34000004
	ds_read_b64 v[56:57], v4 offset:64                         // 00000000626C: D8EC0040 38000004
	ds_read_b64 v[54:55], v4 offset:1152                       // 000000006274: D8EC0480 36000004
	ds_read_b64 v[58:59], v4 offset:1216                       // 00000000627C: D8EC04C0 3A000004
	s_waitcnt lgkmcnt(4)                                       // 000000006284: BF8CC47F
	ds_read_b64 v[60:61], v4 offset:2304                       // 000000006288: D8EC0900 3C000004
	ds_read_b64 v[64:65], v4 offset:2368                       // 000000006290: D8EC0940 40000004
	ds_read_b64 v[62:63], v4 offset:3456                       // 000000006298: D8EC0D80 3E000004
	ds_read_b64 v[66:67], v4 offset:3520                       // 0000000062A0: D8EC0DC0 42000004
	s_waitcnt lgkmcnt(0)                                       // 0000000062A8: BF8CC07F
	v_mov_b32_e32 v18, v19                                     // 0000000062AC: 7E240313
	buffer_store_dwordx4 v[52:55], v18, s[88:91], 0 offen      // 0000000062B0: E07C1000 80163412
	buffer_store_dwordx4 v[60:63], v18, s[88:91], 0 offen offset:128// 0000000062B8: E07C1080 80163C12
	v_add_u32_e32 v18, 0x2000, v18                             // 0000000062C0: 682424FF 00002000
	buffer_store_dwordx4 v[56:59], v18, s[88:91], 0 offen      // 0000000062C8: E07C1000 80163812
	buffer_store_dwordx4 v[64:67], v18, s[88:91], 0 offen offset:128// 0000000062D0: E07C1080 80164012
	v_add_u32_e32 v18, 0x2000, v18                             // 0000000062D8: 682424FF 00002000
	v_mov_b32_e32 v24, v84                                     // 0000000062E0: 7E300354
	v_mov_b32_e32 v25, v88                                     // 0000000062E4: 7E320358
	v_mov_b32_e32 v26, v92                                     // 0000000062E8: 7E34035C
	v_mov_b32_e32 v27, v96                                     // 0000000062EC: 7E360360
	v_cmp_u_f32_e64 s[38:39], v24, v24                         // 0000000062F0: D0480026 00023118
	v_add3_u32 v28, v24, v31, 1                                // 0000000062F8: D1FF001C 02063F18
	v_cndmask_b32_e64 v20, v28, v30, s[38:39]                  // 000000006300: D1000014 009A3D1C
	v_cmp_u_f32_e64 s[38:39], v25, v25                         // 000000006308: D0480026 00023319
	v_add3_u32 v28, v25, v31, 1                                // 000000006310: D1FF001C 02063F19
	v_cndmask_b32_e64 v21, v28, v30, s[38:39]                  // 000000006318: D1000015 009A3D1C
	v_perm_b32 v24, v21, v20, s51                              // 000000006320: D1ED0018 00CE2915
	v_cmp_u_f32_e64 s[38:39], v26, v26                         // 000000006328: D0480026 0002351A
	v_add3_u32 v28, v26, v31, 1                                // 000000006330: D1FF001C 02063F1A
	v_cndmask_b32_e64 v20, v28, v30, s[38:39]                  // 000000006338: D1000014 009A3D1C
	v_cmp_u_f32_e64 s[38:39], v27, v27                         // 000000006340: D0480026 0002371B
	v_add3_u32 v28, v27, v31, 1                                // 000000006348: D1FF001C 02063F1B
	v_cndmask_b32_e64 v21, v28, v30, s[38:39]                  // 000000006350: D1000015 009A3D1C
	v_perm_b32 v25, v21, v20, s51                              // 000000006358: D1ED0019 00CE2915
	ds_write_b64 v5, v[24:25]                                  // 000000006360: D89A0000 00001805
	v_mov_b32_e32 v24, v85                                     // 000000006368: 7E300355
	v_mov_b32_e32 v25, v89                                     // 00000000636C: 7E320359
	v_mov_b32_e32 v26, v93                                     // 000000006370: 7E34035D
	v_mov_b32_e32 v27, v97                                     // 000000006374: 7E360361
	v_cmp_u_f32_e64 s[38:39], v24, v24                         // 000000006378: D0480026 00023118
	v_add3_u32 v28, v24, v31, 1                                // 000000006380: D1FF001C 02063F18
	v_cndmask_b32_e64 v20, v28, v30, s[38:39]                  // 000000006388: D1000014 009A3D1C
	v_cmp_u_f32_e64 s[38:39], v25, v25                         // 000000006390: D0480026 00023319
	v_add3_u32 v28, v25, v31, 1                                // 000000006398: D1FF001C 02063F19
	v_cndmask_b32_e64 v21, v28, v30, s[38:39]                  // 0000000063A0: D1000015 009A3D1C
	v_perm_b32 v24, v21, v20, s51                              // 0000000063A8: D1ED0018 00CE2915
	v_cmp_u_f32_e64 s[38:39], v26, v26                         // 0000000063B0: D0480026 0002351A
	v_add3_u32 v28, v26, v31, 1                                // 0000000063B8: D1FF001C 02063F1A
	v_cndmask_b32_e64 v20, v28, v30, s[38:39]                  // 0000000063C0: D1000014 009A3D1C
	v_cmp_u_f32_e64 s[38:39], v27, v27                         // 0000000063C8: D0480026 0002371B
	v_add3_u32 v28, v27, v31, 1                                // 0000000063D0: D1FF001C 02063F1B
	v_cndmask_b32_e64 v21, v28, v30, s[38:39]                  // 0000000063D8: D1000015 009A3D1C
	v_perm_b32 v25, v21, v20, s51                              // 0000000063E0: D1ED0019 00CE2915
	ds_write_b64 v5, v[24:25] offset:1152                      // 0000000063E8: D89A0480 00001805
	v_mov_b32_e32 v24, v86                                     // 0000000063F0: 7E300356
	v_mov_b32_e32 v25, v90                                     // 0000000063F4: 7E32035A
	v_mov_b32_e32 v26, v94                                     // 0000000063F8: 7E34035E
	v_mov_b32_e32 v27, v98                                     // 0000000063FC: 7E360362
	v_cmp_u_f32_e64 s[38:39], v24, v24                         // 000000006400: D0480026 00023118
	v_add3_u32 v28, v24, v31, 1                                // 000000006408: D1FF001C 02063F18
	v_cndmask_b32_e64 v20, v28, v30, s[38:39]                  // 000000006410: D1000014 009A3D1C
	v_cmp_u_f32_e64 s[38:39], v25, v25                         // 000000006418: D0480026 00023319
	v_add3_u32 v28, v25, v31, 1                                // 000000006420: D1FF001C 02063F19
	v_cndmask_b32_e64 v21, v28, v30, s[38:39]                  // 000000006428: D1000015 009A3D1C
	v_perm_b32 v24, v21, v20, s51                              // 000000006430: D1ED0018 00CE2915
	v_cmp_u_f32_e64 s[38:39], v26, v26                         // 000000006438: D0480026 0002351A
	v_add3_u32 v28, v26, v31, 1                                // 000000006440: D1FF001C 02063F1A
	v_cndmask_b32_e64 v20, v28, v30, s[38:39]                  // 000000006448: D1000014 009A3D1C
	v_cmp_u_f32_e64 s[38:39], v27, v27                         // 000000006450: D0480026 0002371B
	v_add3_u32 v28, v27, v31, 1                                // 000000006458: D1FF001C 02063F1B
	v_cndmask_b32_e64 v21, v28, v30, s[38:39]                  // 000000006460: D1000015 009A3D1C
	v_perm_b32 v25, v21, v20, s51                              // 000000006468: D1ED0019 00CE2915
	ds_write_b64 v5, v[24:25] offset:144                       // 000000006470: D89A0090 00001805
	v_mov_b32_e32 v24, v87                                     // 000000006478: 7E300357
	v_mov_b32_e32 v25, v91                                     // 00000000647C: 7E32035B
	v_mov_b32_e32 v26, v95                                     // 000000006480: 7E34035F
	v_mov_b32_e32 v27, v99                                     // 000000006484: 7E360363
	v_cmp_u_f32_e64 s[38:39], v24, v24                         // 000000006488: D0480026 00023118
	v_add3_u32 v28, v24, v31, 1                                // 000000006490: D1FF001C 02063F18
	v_cndmask_b32_e64 v20, v28, v30, s[38:39]                  // 000000006498: D1000014 009A3D1C
	v_cmp_u_f32_e64 s[38:39], v25, v25                         // 0000000064A0: D0480026 00023319
	v_add3_u32 v28, v25, v31, 1                                // 0000000064A8: D1FF001C 02063F19
	v_cndmask_b32_e64 v21, v28, v30, s[38:39]                  // 0000000064B0: D1000015 009A3D1C
	v_perm_b32 v24, v21, v20, s51                              // 0000000064B8: D1ED0018 00CE2915
	v_cmp_u_f32_e64 s[38:39], v26, v26                         // 0000000064C0: D0480026 0002351A
	v_add3_u32 v28, v26, v31, 1                                // 0000000064C8: D1FF001C 02063F1A
	v_cndmask_b32_e64 v20, v28, v30, s[38:39]                  // 0000000064D0: D1000014 009A3D1C
	v_cmp_u_f32_e64 s[38:39], v27, v27                         // 0000000064D8: D0480026 0002371B
	v_add3_u32 v28, v27, v31, 1                                // 0000000064E0: D1FF001C 02063F1B
	v_cndmask_b32_e64 v21, v28, v30, s[38:39]                  // 0000000064E8: D1000015 009A3D1C
	v_perm_b32 v25, v21, v20, s51                              // 0000000064F0: D1ED0019 00CE2915
	ds_write_b64 v5, v[24:25] offset:1296                      // 0000000064F8: D89A0510 00001805
	v_mov_b32_e32 v24, v100                                    // 000000006500: 7E300364
	v_mov_b32_e32 v25, v104                                    // 000000006504: 7E320368
	v_mov_b32_e32 v26, v108                                    // 000000006508: 7E34036C
	v_mov_b32_e32 v27, v112                                    // 00000000650C: 7E360370
	v_cmp_u_f32_e64 s[38:39], v24, v24                         // 000000006510: D0480026 00023118
	v_add3_u32 v28, v24, v31, 1                                // 000000006518: D1FF001C 02063F18
	v_cndmask_b32_e64 v20, v28, v30, s[38:39]                  // 000000006520: D1000014 009A3D1C
	v_cmp_u_f32_e64 s[38:39], v25, v25                         // 000000006528: D0480026 00023319
	v_add3_u32 v28, v25, v31, 1                                // 000000006530: D1FF001C 02063F19
	v_cndmask_b32_e64 v21, v28, v30, s[38:39]                  // 000000006538: D1000015 009A3D1C
	v_perm_b32 v24, v21, v20, s51                              // 000000006540: D1ED0018 00CE2915
	v_cmp_u_f32_e64 s[38:39], v26, v26                         // 000000006548: D0480026 0002351A
	v_add3_u32 v28, v26, v31, 1                                // 000000006550: D1FF001C 02063F1A
	v_cndmask_b32_e64 v20, v28, v30, s[38:39]                  // 000000006558: D1000014 009A3D1C
	v_cmp_u_f32_e64 s[38:39], v27, v27                         // 000000006560: D0480026 0002371B
	v_add3_u32 v28, v27, v31, 1                                // 000000006568: D1FF001C 02063F1B
	v_cndmask_b32_e64 v21, v28, v30, s[38:39]                  // 000000006570: D1000015 009A3D1C
	v_perm_b32 v25, v21, v20, s51                              // 000000006578: D1ED0019 00CE2915
	ds_write_b64 v5, v[24:25] offset:2304                      // 000000006580: D89A0900 00001805
	v_mov_b32_e32 v24, v101                                    // 000000006588: 7E300365
	v_mov_b32_e32 v25, v105                                    // 00000000658C: 7E320369
	v_mov_b32_e32 v26, v109                                    // 000000006590: 7E34036D
	v_mov_b32_e32 v27, v113                                    // 000000006594: 7E360371
	v_cmp_u_f32_e64 s[38:39], v24, v24                         // 000000006598: D0480026 00023118
	v_add3_u32 v28, v24, v31, 1                                // 0000000065A0: D1FF001C 02063F18
	v_cndmask_b32_e64 v20, v28, v30, s[38:39]                  // 0000000065A8: D1000014 009A3D1C
	v_cmp_u_f32_e64 s[38:39], v25, v25                         // 0000000065B0: D0480026 00023319
	v_add3_u32 v28, v25, v31, 1                                // 0000000065B8: D1FF001C 02063F19
	v_cndmask_b32_e64 v21, v28, v30, s[38:39]                  // 0000000065C0: D1000015 009A3D1C
	v_perm_b32 v24, v21, v20, s51                              // 0000000065C8: D1ED0018 00CE2915
	v_cmp_u_f32_e64 s[38:39], v26, v26                         // 0000000065D0: D0480026 0002351A
	v_add3_u32 v28, v26, v31, 1                                // 0000000065D8: D1FF001C 02063F1A
	v_cndmask_b32_e64 v20, v28, v30, s[38:39]                  // 0000000065E0: D1000014 009A3D1C
	v_cmp_u_f32_e64 s[38:39], v27, v27                         // 0000000065E8: D0480026 0002371B
	v_add3_u32 v28, v27, v31, 1                                // 0000000065F0: D1FF001C 02063F1B
	v_cndmask_b32_e64 v21, v28, v30, s[38:39]                  // 0000000065F8: D1000015 009A3D1C
	v_perm_b32 v25, v21, v20, s51                              // 000000006600: D1ED0019 00CE2915
	ds_write_b64 v5, v[24:25] offset:3456                      // 000000006608: D89A0D80 00001805
	v_mov_b32_e32 v24, v102                                    // 000000006610: 7E300366
	v_mov_b32_e32 v25, v106                                    // 000000006614: 7E32036A
	v_mov_b32_e32 v26, v110                                    // 000000006618: 7E34036E
	v_mov_b32_e32 v27, v114                                    // 00000000661C: 7E360372
	v_cmp_u_f32_e64 s[38:39], v24, v24                         // 000000006620: D0480026 00023118
	v_add3_u32 v28, v24, v31, 1                                // 000000006628: D1FF001C 02063F18
	v_cndmask_b32_e64 v20, v28, v30, s[38:39]                  // 000000006630: D1000014 009A3D1C
	v_cmp_u_f32_e64 s[38:39], v25, v25                         // 000000006638: D0480026 00023319
	v_add3_u32 v28, v25, v31, 1                                // 000000006640: D1FF001C 02063F19
	v_cndmask_b32_e64 v21, v28, v30, s[38:39]                  // 000000006648: D1000015 009A3D1C
	v_perm_b32 v24, v21, v20, s51                              // 000000006650: D1ED0018 00CE2915
	v_cmp_u_f32_e64 s[38:39], v26, v26                         // 000000006658: D0480026 0002351A
	v_add3_u32 v28, v26, v31, 1                                // 000000006660: D1FF001C 02063F1A
	v_cndmask_b32_e64 v20, v28, v30, s[38:39]                  // 000000006668: D1000014 009A3D1C
	v_cmp_u_f32_e64 s[38:39], v27, v27                         // 000000006670: D0480026 0002371B
	v_add3_u32 v28, v27, v31, 1                                // 000000006678: D1FF001C 02063F1B
	v_cndmask_b32_e64 v21, v28, v30, s[38:39]                  // 000000006680: D1000015 009A3D1C
	v_perm_b32 v25, v21, v20, s51                              // 000000006688: D1ED0019 00CE2915
	ds_write_b64 v5, v[24:25] offset:2448                      // 000000006690: D89A0990 00001805
	v_mov_b32_e32 v24, v103                                    // 000000006698: 7E300367
	v_mov_b32_e32 v25, v107                                    // 00000000669C: 7E32036B
	v_mov_b32_e32 v26, v111                                    // 0000000066A0: 7E34036F
	v_mov_b32_e32 v27, v115                                    // 0000000066A4: 7E360373
	v_cmp_u_f32_e64 s[38:39], v24, v24                         // 0000000066A8: D0480026 00023118
	v_add3_u32 v28, v24, v31, 1                                // 0000000066B0: D1FF001C 02063F18
	v_cndmask_b32_e64 v20, v28, v30, s[38:39]                  // 0000000066B8: D1000014 009A3D1C
	v_cmp_u_f32_e64 s[38:39], v25, v25                         // 0000000066C0: D0480026 00023319
	v_add3_u32 v28, v25, v31, 1                                // 0000000066C8: D1FF001C 02063F19
	v_cndmask_b32_e64 v21, v28, v30, s[38:39]                  // 0000000066D0: D1000015 009A3D1C
	v_perm_b32 v24, v21, v20, s51                              // 0000000066D8: D1ED0018 00CE2915
	v_cmp_u_f32_e64 s[38:39], v26, v26                         // 0000000066E0: D0480026 0002351A
	v_add3_u32 v28, v26, v31, 1                                // 0000000066E8: D1FF001C 02063F1A
	v_cndmask_b32_e64 v20, v28, v30, s[38:39]                  // 0000000066F0: D1000014 009A3D1C
	v_cmp_u_f32_e64 s[38:39], v27, v27                         // 0000000066F8: D0480026 0002371B
	v_add3_u32 v28, v27, v31, 1                                // 000000006700: D1FF001C 02063F1B
	v_cndmask_b32_e64 v21, v28, v30, s[38:39]                  // 000000006708: D1000015 009A3D1C
	v_perm_b32 v25, v21, v20, s51                              // 000000006710: D1ED0019 00CE2915
	ds_write_b64 v5, v[24:25] offset:3600                      // 000000006718: D89A0E10 00001805
	s_waitcnt lgkmcnt(4)                                       // 000000006720: BF8CC47F
	ds_read_b64 v[52:53], v4                                   // 000000006724: D8EC0000 34000004
	ds_read_b64 v[56:57], v4 offset:64                         // 00000000672C: D8EC0040 38000004
	ds_read_b64 v[54:55], v4 offset:1152                       // 000000006734: D8EC0480 36000004
	ds_read_b64 v[58:59], v4 offset:1216                       // 00000000673C: D8EC04C0 3A000004
	s_waitcnt lgkmcnt(4)                                       // 000000006744: BF8CC47F
	ds_read_b64 v[60:61], v4 offset:2304                       // 000000006748: D8EC0900 3C000004
	ds_read_b64 v[64:65], v4 offset:2368                       // 000000006750: D8EC0940 40000004
	ds_read_b64 v[62:63], v4 offset:3456                       // 000000006758: D8EC0D80 3E000004
	ds_read_b64 v[66:67], v4 offset:3520                       // 000000006760: D8EC0DC0 42000004
	s_waitcnt lgkmcnt(0)                                       // 000000006768: BF8CC07F
	v_mov_b32_e32 v18, v19                                     // 00000000676C: 7E240313
	buffer_store_dwordx4 v[52:55], v18, s[88:91], 0 offen offset:256// 000000006770: E07C1100 80163412
	buffer_store_dwordx4 v[60:63], v18, s[88:91], 0 offen offset:384// 000000006778: E07C1180 80163C12
	v_add_u32_e32 v18, 0x2000, v18                             // 000000006780: 682424FF 00002000
	buffer_store_dwordx4 v[56:59], v18, s[88:91], 0 offen offset:256// 000000006788: E07C1100 80163812
	buffer_store_dwordx4 v[64:67], v18, s[88:91], 0 offen offset:384// 000000006790: E07C1180 80164012
	v_add_u32_e32 v18, 0x2000, v18                             // 000000006798: 682424FF 00002000
	v_mov_b32_e32 v24, v116                                    // 0000000067A0: 7E300374
	v_mov_b32_e32 v25, v120                                    // 0000000067A4: 7E320378
	v_mov_b32_e32 v26, v124                                    // 0000000067A8: 7E34037C
	v_mov_b32_e32 v27, v128                                    // 0000000067AC: 7E360380
	v_cmp_u_f32_e64 s[38:39], v24, v24                         // 0000000067B0: D0480026 00023118
	v_add3_u32 v28, v24, v31, 1                                // 0000000067B8: D1FF001C 02063F18
	v_cndmask_b32_e64 v20, v28, v30, s[38:39]                  // 0000000067C0: D1000014 009A3D1C
	v_cmp_u_f32_e64 s[38:39], v25, v25                         // 0000000067C8: D0480026 00023319
	v_add3_u32 v28, v25, v31, 1                                // 0000000067D0: D1FF001C 02063F19
	v_cndmask_b32_e64 v21, v28, v30, s[38:39]                  // 0000000067D8: D1000015 009A3D1C
	v_perm_b32 v24, v21, v20, s51                              // 0000000067E0: D1ED0018 00CE2915
	v_cmp_u_f32_e64 s[38:39], v26, v26                         // 0000000067E8: D0480026 0002351A
	v_add3_u32 v28, v26, v31, 1                                // 0000000067F0: D1FF001C 02063F1A
	v_cndmask_b32_e64 v20, v28, v30, s[38:39]                  // 0000000067F8: D1000014 009A3D1C
	v_cmp_u_f32_e64 s[38:39], v27, v27                         // 000000006800: D0480026 0002371B
	v_add3_u32 v28, v27, v31, 1                                // 000000006808: D1FF001C 02063F1B
	v_cndmask_b32_e64 v21, v28, v30, s[38:39]                  // 000000006810: D1000015 009A3D1C
	v_perm_b32 v25, v21, v20, s51                              // 000000006818: D1ED0019 00CE2915
	ds_write_b64 v5, v[24:25]                                  // 000000006820: D89A0000 00001805
	v_mov_b32_e32 v24, v117                                    // 000000006828: 7E300375
	v_mov_b32_e32 v25, v121                                    // 00000000682C: 7E320379
	v_mov_b32_e32 v26, v125                                    // 000000006830: 7E34037D
	v_mov_b32_e32 v27, v129                                    // 000000006834: 7E360381
	v_cmp_u_f32_e64 s[38:39], v24, v24                         // 000000006838: D0480026 00023118
	v_add3_u32 v28, v24, v31, 1                                // 000000006840: D1FF001C 02063F18
	v_cndmask_b32_e64 v20, v28, v30, s[38:39]                  // 000000006848: D1000014 009A3D1C
	v_cmp_u_f32_e64 s[38:39], v25, v25                         // 000000006850: D0480026 00023319
	v_add3_u32 v28, v25, v31, 1                                // 000000006858: D1FF001C 02063F19
	v_cndmask_b32_e64 v21, v28, v30, s[38:39]                  // 000000006860: D1000015 009A3D1C
	v_perm_b32 v24, v21, v20, s51                              // 000000006868: D1ED0018 00CE2915
	v_cmp_u_f32_e64 s[38:39], v26, v26                         // 000000006870: D0480026 0002351A
	v_add3_u32 v28, v26, v31, 1                                // 000000006878: D1FF001C 02063F1A
	v_cndmask_b32_e64 v20, v28, v30, s[38:39]                  // 000000006880: D1000014 009A3D1C
	v_cmp_u_f32_e64 s[38:39], v27, v27                         // 000000006888: D0480026 0002371B
	v_add3_u32 v28, v27, v31, 1                                // 000000006890: D1FF001C 02063F1B
	v_cndmask_b32_e64 v21, v28, v30, s[38:39]                  // 000000006898: D1000015 009A3D1C
	v_perm_b32 v25, v21, v20, s51                              // 0000000068A0: D1ED0019 00CE2915
	ds_write_b64 v5, v[24:25] offset:1152                      // 0000000068A8: D89A0480 00001805
	v_mov_b32_e32 v24, v118                                    // 0000000068B0: 7E300376
	v_mov_b32_e32 v25, v122                                    // 0000000068B4: 7E32037A
	v_mov_b32_e32 v26, v126                                    // 0000000068B8: 7E34037E
	v_mov_b32_e32 v27, v130                                    // 0000000068BC: 7E360382
	v_cmp_u_f32_e64 s[38:39], v24, v24                         // 0000000068C0: D0480026 00023118
	v_add3_u32 v28, v24, v31, 1                                // 0000000068C8: D1FF001C 02063F18
	v_cndmask_b32_e64 v20, v28, v30, s[38:39]                  // 0000000068D0: D1000014 009A3D1C
	v_cmp_u_f32_e64 s[38:39], v25, v25                         // 0000000068D8: D0480026 00023319
	v_add3_u32 v28, v25, v31, 1                                // 0000000068E0: D1FF001C 02063F19
	v_cndmask_b32_e64 v21, v28, v30, s[38:39]                  // 0000000068E8: D1000015 009A3D1C
	v_perm_b32 v24, v21, v20, s51                              // 0000000068F0: D1ED0018 00CE2915
	v_cmp_u_f32_e64 s[38:39], v26, v26                         // 0000000068F8: D0480026 0002351A
	v_add3_u32 v28, v26, v31, 1                                // 000000006900: D1FF001C 02063F1A
	v_cndmask_b32_e64 v20, v28, v30, s[38:39]                  // 000000006908: D1000014 009A3D1C
	v_cmp_u_f32_e64 s[38:39], v27, v27                         // 000000006910: D0480026 0002371B
	v_add3_u32 v28, v27, v31, 1                                // 000000006918: D1FF001C 02063F1B
	v_cndmask_b32_e64 v21, v28, v30, s[38:39]                  // 000000006920: D1000015 009A3D1C
	v_perm_b32 v25, v21, v20, s51                              // 000000006928: D1ED0019 00CE2915
	ds_write_b64 v5, v[24:25] offset:144                       // 000000006930: D89A0090 00001805
	v_mov_b32_e32 v24, v119                                    // 000000006938: 7E300377
	v_mov_b32_e32 v25, v123                                    // 00000000693C: 7E32037B
	v_mov_b32_e32 v26, v127                                    // 000000006940: 7E34037F
	v_mov_b32_e32 v27, v131                                    // 000000006944: 7E360383
	v_cmp_u_f32_e64 s[38:39], v24, v24                         // 000000006948: D0480026 00023118
	v_add3_u32 v28, v24, v31, 1                                // 000000006950: D1FF001C 02063F18
	v_cndmask_b32_e64 v20, v28, v30, s[38:39]                  // 000000006958: D1000014 009A3D1C
	v_cmp_u_f32_e64 s[38:39], v25, v25                         // 000000006960: D0480026 00023319
	v_add3_u32 v28, v25, v31, 1                                // 000000006968: D1FF001C 02063F19
	v_cndmask_b32_e64 v21, v28, v30, s[38:39]                  // 000000006970: D1000015 009A3D1C
	v_perm_b32 v24, v21, v20, s51                              // 000000006978: D1ED0018 00CE2915
	v_cmp_u_f32_e64 s[38:39], v26, v26                         // 000000006980: D0480026 0002351A
	v_add3_u32 v28, v26, v31, 1                                // 000000006988: D1FF001C 02063F1A
	v_cndmask_b32_e64 v20, v28, v30, s[38:39]                  // 000000006990: D1000014 009A3D1C
	v_cmp_u_f32_e64 s[38:39], v27, v27                         // 000000006998: D0480026 0002371B
	v_add3_u32 v28, v27, v31, 1                                // 0000000069A0: D1FF001C 02063F1B
	v_cndmask_b32_e64 v21, v28, v30, s[38:39]                  // 0000000069A8: D1000015 009A3D1C
	v_perm_b32 v25, v21, v20, s51                              // 0000000069B0: D1ED0019 00CE2915
	ds_write_b64 v5, v[24:25] offset:1296                      // 0000000069B8: D89A0510 00001805
	v_mov_b32_e32 v24, v132                                    // 0000000069C0: 7E300384
	v_mov_b32_e32 v25, v136                                    // 0000000069C4: 7E320388
	v_mov_b32_e32 v26, v140                                    // 0000000069C8: 7E34038C
	v_mov_b32_e32 v27, v144                                    // 0000000069CC: 7E360390
	v_cmp_u_f32_e64 s[38:39], v24, v24                         // 0000000069D0: D0480026 00023118
	v_add3_u32 v28, v24, v31, 1                                // 0000000069D8: D1FF001C 02063F18
	v_cndmask_b32_e64 v20, v28, v30, s[38:39]                  // 0000000069E0: D1000014 009A3D1C
	v_cmp_u_f32_e64 s[38:39], v25, v25                         // 0000000069E8: D0480026 00023319
	v_add3_u32 v28, v25, v31, 1                                // 0000000069F0: D1FF001C 02063F19
	v_cndmask_b32_e64 v21, v28, v30, s[38:39]                  // 0000000069F8: D1000015 009A3D1C
	v_perm_b32 v24, v21, v20, s51                              // 000000006A00: D1ED0018 00CE2915
	v_cmp_u_f32_e64 s[38:39], v26, v26                         // 000000006A08: D0480026 0002351A
	v_add3_u32 v28, v26, v31, 1                                // 000000006A10: D1FF001C 02063F1A
	v_cndmask_b32_e64 v20, v28, v30, s[38:39]                  // 000000006A18: D1000014 009A3D1C
	v_cmp_u_f32_e64 s[38:39], v27, v27                         // 000000006A20: D0480026 0002371B
	v_add3_u32 v28, v27, v31, 1                                // 000000006A28: D1FF001C 02063F1B
	v_cndmask_b32_e64 v21, v28, v30, s[38:39]                  // 000000006A30: D1000015 009A3D1C
	v_perm_b32 v25, v21, v20, s51                              // 000000006A38: D1ED0019 00CE2915
	ds_write_b64 v5, v[24:25] offset:2304                      // 000000006A40: D89A0900 00001805
	v_mov_b32_e32 v24, v133                                    // 000000006A48: 7E300385
	v_mov_b32_e32 v25, v137                                    // 000000006A4C: 7E320389
	v_mov_b32_e32 v26, v141                                    // 000000006A50: 7E34038D
	v_mov_b32_e32 v27, v145                                    // 000000006A54: 7E360391
	v_cmp_u_f32_e64 s[38:39], v24, v24                         // 000000006A58: D0480026 00023118
	v_add3_u32 v28, v24, v31, 1                                // 000000006A60: D1FF001C 02063F18
	v_cndmask_b32_e64 v20, v28, v30, s[38:39]                  // 000000006A68: D1000014 009A3D1C
	v_cmp_u_f32_e64 s[38:39], v25, v25                         // 000000006A70: D0480026 00023319
	v_add3_u32 v28, v25, v31, 1                                // 000000006A78: D1FF001C 02063F19
	v_cndmask_b32_e64 v21, v28, v30, s[38:39]                  // 000000006A80: D1000015 009A3D1C
	v_perm_b32 v24, v21, v20, s51                              // 000000006A88: D1ED0018 00CE2915
	v_cmp_u_f32_e64 s[38:39], v26, v26                         // 000000006A90: D0480026 0002351A
	v_add3_u32 v28, v26, v31, 1                                // 000000006A98: D1FF001C 02063F1A
	v_cndmask_b32_e64 v20, v28, v30, s[38:39]                  // 000000006AA0: D1000014 009A3D1C
	v_cmp_u_f32_e64 s[38:39], v27, v27                         // 000000006AA8: D0480026 0002371B
	v_add3_u32 v28, v27, v31, 1                                // 000000006AB0: D1FF001C 02063F1B
	v_cndmask_b32_e64 v21, v28, v30, s[38:39]                  // 000000006AB8: D1000015 009A3D1C
	v_perm_b32 v25, v21, v20, s51                              // 000000006AC0: D1ED0019 00CE2915
	ds_write_b64 v5, v[24:25] offset:3456                      // 000000006AC8: D89A0D80 00001805
	v_mov_b32_e32 v24, v134                                    // 000000006AD0: 7E300386
	v_mov_b32_e32 v25, v138                                    // 000000006AD4: 7E32038A
	v_mov_b32_e32 v26, v142                                    // 000000006AD8: 7E34038E
	v_mov_b32_e32 v27, v146                                    // 000000006ADC: 7E360392
	v_cmp_u_f32_e64 s[38:39], v24, v24                         // 000000006AE0: D0480026 00023118
	v_add3_u32 v28, v24, v31, 1                                // 000000006AE8: D1FF001C 02063F18
	v_cndmask_b32_e64 v20, v28, v30, s[38:39]                  // 000000006AF0: D1000014 009A3D1C
	v_cmp_u_f32_e64 s[38:39], v25, v25                         // 000000006AF8: D0480026 00023319
	v_add3_u32 v28, v25, v31, 1                                // 000000006B00: D1FF001C 02063F19
	v_cndmask_b32_e64 v21, v28, v30, s[38:39]                  // 000000006B08: D1000015 009A3D1C
	v_perm_b32 v24, v21, v20, s51                              // 000000006B10: D1ED0018 00CE2915
	v_cmp_u_f32_e64 s[38:39], v26, v26                         // 000000006B18: D0480026 0002351A
	v_add3_u32 v28, v26, v31, 1                                // 000000006B20: D1FF001C 02063F1A
	v_cndmask_b32_e64 v20, v28, v30, s[38:39]                  // 000000006B28: D1000014 009A3D1C
	v_cmp_u_f32_e64 s[38:39], v27, v27                         // 000000006B30: D0480026 0002371B
	v_add3_u32 v28, v27, v31, 1                                // 000000006B38: D1FF001C 02063F1B
	v_cndmask_b32_e64 v21, v28, v30, s[38:39]                  // 000000006B40: D1000015 009A3D1C
	v_perm_b32 v25, v21, v20, s51                              // 000000006B48: D1ED0019 00CE2915
	ds_write_b64 v5, v[24:25] offset:2448                      // 000000006B50: D89A0990 00001805
	v_mov_b32_e32 v24, v135                                    // 000000006B58: 7E300387
	v_mov_b32_e32 v25, v139                                    // 000000006B5C: 7E32038B
	v_mov_b32_e32 v26, v143                                    // 000000006B60: 7E34038F
	v_mov_b32_e32 v27, v147                                    // 000000006B64: 7E360393
	v_cmp_u_f32_e64 s[38:39], v24, v24                         // 000000006B68: D0480026 00023118
	v_add3_u32 v28, v24, v31, 1                                // 000000006B70: D1FF001C 02063F18
	v_cndmask_b32_e64 v20, v28, v30, s[38:39]                  // 000000006B78: D1000014 009A3D1C
	v_cmp_u_f32_e64 s[38:39], v25, v25                         // 000000006B80: D0480026 00023319
	v_add3_u32 v28, v25, v31, 1                                // 000000006B88: D1FF001C 02063F19
	v_cndmask_b32_e64 v21, v28, v30, s[38:39]                  // 000000006B90: D1000015 009A3D1C
	v_perm_b32 v24, v21, v20, s51                              // 000000006B98: D1ED0018 00CE2915
	v_cmp_u_f32_e64 s[38:39], v26, v26                         // 000000006BA0: D0480026 0002351A
	v_add3_u32 v28, v26, v31, 1                                // 000000006BA8: D1FF001C 02063F1A
	v_cndmask_b32_e64 v20, v28, v30, s[38:39]                  // 000000006BB0: D1000014 009A3D1C
	v_cmp_u_f32_e64 s[38:39], v27, v27                         // 000000006BB8: D0480026 0002371B
	v_add3_u32 v28, v27, v31, 1                                // 000000006BC0: D1FF001C 02063F1B
	v_cndmask_b32_e64 v21, v28, v30, s[38:39]                  // 000000006BC8: D1000015 009A3D1C
	v_perm_b32 v25, v21, v20, s51                              // 000000006BD0: D1ED0019 00CE2915
	ds_write_b64 v5, v[24:25] offset:3600                      // 000000006BD8: D89A0E10 00001805
	s_waitcnt lgkmcnt(4)                                       // 000000006BE0: BF8CC47F
	ds_read_b64 v[52:53], v4                                   // 000000006BE4: D8EC0000 34000004
	ds_read_b64 v[56:57], v4 offset:64                         // 000000006BEC: D8EC0040 38000004
	ds_read_b64 v[54:55], v4 offset:1152                       // 000000006BF4: D8EC0480 36000004
	ds_read_b64 v[58:59], v4 offset:1216                       // 000000006BFC: D8EC04C0 3A000004
	s_waitcnt lgkmcnt(4)                                       // 000000006C04: BF8CC47F
	ds_read_b64 v[60:61], v4 offset:2304                       // 000000006C08: D8EC0900 3C000004
	ds_read_b64 v[64:65], v4 offset:2368                       // 000000006C10: D8EC0940 40000004
	ds_read_b64 v[62:63], v4 offset:3456                       // 000000006C18: D8EC0D80 3E000004
	ds_read_b64 v[66:67], v4 offset:3520                       // 000000006C20: D8EC0DC0 42000004
	s_waitcnt lgkmcnt(0)                                       // 000000006C28: BF8CC07F
	v_mov_b32_e32 v18, v19                                     // 000000006C2C: 7E240313
	buffer_store_dwordx4 v[52:55], v18, s[88:91], 0 offen offset:512// 000000006C30: E07C1200 80163412
	buffer_store_dwordx4 v[60:63], v18, s[88:91], 0 offen offset:640// 000000006C38: E07C1280 80163C12
	v_add_u32_e32 v18, 0x2000, v18                             // 000000006C40: 682424FF 00002000
	buffer_store_dwordx4 v[56:59], v18, s[88:91], 0 offen offset:512// 000000006C48: E07C1200 80163812
	buffer_store_dwordx4 v[64:67], v18, s[88:91], 0 offen offset:640// 000000006C50: E07C1280 80164012
	v_add_u32_e32 v18, 0x2000, v18                             // 000000006C58: 682424FF 00002000
	v_mov_b32_e32 v24, v148                                    // 000000006C60: 7E300394
	v_mov_b32_e32 v25, v152                                    // 000000006C64: 7E320398
	v_mov_b32_e32 v26, v156                                    // 000000006C68: 7E34039C
	v_mov_b32_e32 v27, v160                                    // 000000006C6C: 7E3603A0
	v_cmp_u_f32_e64 s[38:39], v24, v24                         // 000000006C70: D0480026 00023118
	v_add3_u32 v28, v24, v31, 1                                // 000000006C78: D1FF001C 02063F18
	v_cndmask_b32_e64 v20, v28, v30, s[38:39]                  // 000000006C80: D1000014 009A3D1C
	v_cmp_u_f32_e64 s[38:39], v25, v25                         // 000000006C88: D0480026 00023319
	v_add3_u32 v28, v25, v31, 1                                // 000000006C90: D1FF001C 02063F19
	v_cndmask_b32_e64 v21, v28, v30, s[38:39]                  // 000000006C98: D1000015 009A3D1C
	v_perm_b32 v24, v21, v20, s51                              // 000000006CA0: D1ED0018 00CE2915
	v_cmp_u_f32_e64 s[38:39], v26, v26                         // 000000006CA8: D0480026 0002351A
	v_add3_u32 v28, v26, v31, 1                                // 000000006CB0: D1FF001C 02063F1A
	v_cndmask_b32_e64 v20, v28, v30, s[38:39]                  // 000000006CB8: D1000014 009A3D1C
	v_cmp_u_f32_e64 s[38:39], v27, v27                         // 000000006CC0: D0480026 0002371B
	v_add3_u32 v28, v27, v31, 1                                // 000000006CC8: D1FF001C 02063F1B
	v_cndmask_b32_e64 v21, v28, v30, s[38:39]                  // 000000006CD0: D1000015 009A3D1C
	v_perm_b32 v25, v21, v20, s51                              // 000000006CD8: D1ED0019 00CE2915
	ds_write_b64 v5, v[24:25]                                  // 000000006CE0: D89A0000 00001805
	v_mov_b32_e32 v24, v149                                    // 000000006CE8: 7E300395
	v_mov_b32_e32 v25, v153                                    // 000000006CEC: 7E320399
	v_mov_b32_e32 v26, v157                                    // 000000006CF0: 7E34039D
	v_mov_b32_e32 v27, v161                                    // 000000006CF4: 7E3603A1
	v_cmp_u_f32_e64 s[38:39], v24, v24                         // 000000006CF8: D0480026 00023118
	v_add3_u32 v28, v24, v31, 1                                // 000000006D00: D1FF001C 02063F18
	v_cndmask_b32_e64 v20, v28, v30, s[38:39]                  // 000000006D08: D1000014 009A3D1C
	v_cmp_u_f32_e64 s[38:39], v25, v25                         // 000000006D10: D0480026 00023319
	v_add3_u32 v28, v25, v31, 1                                // 000000006D18: D1FF001C 02063F19
	v_cndmask_b32_e64 v21, v28, v30, s[38:39]                  // 000000006D20: D1000015 009A3D1C
	v_perm_b32 v24, v21, v20, s51                              // 000000006D28: D1ED0018 00CE2915
	v_cmp_u_f32_e64 s[38:39], v26, v26                         // 000000006D30: D0480026 0002351A
	v_add3_u32 v28, v26, v31, 1                                // 000000006D38: D1FF001C 02063F1A
	v_cndmask_b32_e64 v20, v28, v30, s[38:39]                  // 000000006D40: D1000014 009A3D1C
	v_cmp_u_f32_e64 s[38:39], v27, v27                         // 000000006D48: D0480026 0002371B
	v_add3_u32 v28, v27, v31, 1                                // 000000006D50: D1FF001C 02063F1B
	v_cndmask_b32_e64 v21, v28, v30, s[38:39]                  // 000000006D58: D1000015 009A3D1C
	v_perm_b32 v25, v21, v20, s51                              // 000000006D60: D1ED0019 00CE2915
	ds_write_b64 v5, v[24:25] offset:1152                      // 000000006D68: D89A0480 00001805
	v_mov_b32_e32 v24, v150                                    // 000000006D70: 7E300396
	v_mov_b32_e32 v25, v154                                    // 000000006D74: 7E32039A
	v_mov_b32_e32 v26, v158                                    // 000000006D78: 7E34039E
	v_mov_b32_e32 v27, v162                                    // 000000006D7C: 7E3603A2
	v_cmp_u_f32_e64 s[38:39], v24, v24                         // 000000006D80: D0480026 00023118
	v_add3_u32 v28, v24, v31, 1                                // 000000006D88: D1FF001C 02063F18
	v_cndmask_b32_e64 v20, v28, v30, s[38:39]                  // 000000006D90: D1000014 009A3D1C
	v_cmp_u_f32_e64 s[38:39], v25, v25                         // 000000006D98: D0480026 00023319
	v_add3_u32 v28, v25, v31, 1                                // 000000006DA0: D1FF001C 02063F19
	v_cndmask_b32_e64 v21, v28, v30, s[38:39]                  // 000000006DA8: D1000015 009A3D1C
	v_perm_b32 v24, v21, v20, s51                              // 000000006DB0: D1ED0018 00CE2915
	v_cmp_u_f32_e64 s[38:39], v26, v26                         // 000000006DB8: D0480026 0002351A
	v_add3_u32 v28, v26, v31, 1                                // 000000006DC0: D1FF001C 02063F1A
	v_cndmask_b32_e64 v20, v28, v30, s[38:39]                  // 000000006DC8: D1000014 009A3D1C
	v_cmp_u_f32_e64 s[38:39], v27, v27                         // 000000006DD0: D0480026 0002371B
	v_add3_u32 v28, v27, v31, 1                                // 000000006DD8: D1FF001C 02063F1B
	v_cndmask_b32_e64 v21, v28, v30, s[38:39]                  // 000000006DE0: D1000015 009A3D1C
	v_perm_b32 v25, v21, v20, s51                              // 000000006DE8: D1ED0019 00CE2915
	ds_write_b64 v5, v[24:25] offset:144                       // 000000006DF0: D89A0090 00001805
	v_mov_b32_e32 v24, v151                                    // 000000006DF8: 7E300397
	v_mov_b32_e32 v25, v155                                    // 000000006DFC: 7E32039B
	v_mov_b32_e32 v26, v159                                    // 000000006E00: 7E34039F
	v_mov_b32_e32 v27, v163                                    // 000000006E04: 7E3603A3
	v_cmp_u_f32_e64 s[38:39], v24, v24                         // 000000006E08: D0480026 00023118
	v_add3_u32 v28, v24, v31, 1                                // 000000006E10: D1FF001C 02063F18
	v_cndmask_b32_e64 v20, v28, v30, s[38:39]                  // 000000006E18: D1000014 009A3D1C
	v_cmp_u_f32_e64 s[38:39], v25, v25                         // 000000006E20: D0480026 00023319
	v_add3_u32 v28, v25, v31, 1                                // 000000006E28: D1FF001C 02063F19
	v_cndmask_b32_e64 v21, v28, v30, s[38:39]                  // 000000006E30: D1000015 009A3D1C
	v_perm_b32 v24, v21, v20, s51                              // 000000006E38: D1ED0018 00CE2915
	v_cmp_u_f32_e64 s[38:39], v26, v26                         // 000000006E40: D0480026 0002351A
	v_add3_u32 v28, v26, v31, 1                                // 000000006E48: D1FF001C 02063F1A
	v_cndmask_b32_e64 v20, v28, v30, s[38:39]                  // 000000006E50: D1000014 009A3D1C
	v_cmp_u_f32_e64 s[38:39], v27, v27                         // 000000006E58: D0480026 0002371B
	v_add3_u32 v28, v27, v31, 1                                // 000000006E60: D1FF001C 02063F1B
	v_cndmask_b32_e64 v21, v28, v30, s[38:39]                  // 000000006E68: D1000015 009A3D1C
	v_perm_b32 v25, v21, v20, s51                              // 000000006E70: D1ED0019 00CE2915
	ds_write_b64 v5, v[24:25] offset:1296                      // 000000006E78: D89A0510 00001805
	v_mov_b32_e32 v24, v164                                    // 000000006E80: 7E3003A4
	v_mov_b32_e32 v25, v168                                    // 000000006E84: 7E3203A8
	v_mov_b32_e32 v26, v172                                    // 000000006E88: 7E3403AC
	v_mov_b32_e32 v27, v176                                    // 000000006E8C: 7E3603B0
	v_cmp_u_f32_e64 s[38:39], v24, v24                         // 000000006E90: D0480026 00023118
	v_add3_u32 v28, v24, v31, 1                                // 000000006E98: D1FF001C 02063F18
	v_cndmask_b32_e64 v20, v28, v30, s[38:39]                  // 000000006EA0: D1000014 009A3D1C
	v_cmp_u_f32_e64 s[38:39], v25, v25                         // 000000006EA8: D0480026 00023319
	v_add3_u32 v28, v25, v31, 1                                // 000000006EB0: D1FF001C 02063F19
	v_cndmask_b32_e64 v21, v28, v30, s[38:39]                  // 000000006EB8: D1000015 009A3D1C
	v_perm_b32 v24, v21, v20, s51                              // 000000006EC0: D1ED0018 00CE2915
	v_cmp_u_f32_e64 s[38:39], v26, v26                         // 000000006EC8: D0480026 0002351A
	v_add3_u32 v28, v26, v31, 1                                // 000000006ED0: D1FF001C 02063F1A
	v_cndmask_b32_e64 v20, v28, v30, s[38:39]                  // 000000006ED8: D1000014 009A3D1C
	v_cmp_u_f32_e64 s[38:39], v27, v27                         // 000000006EE0: D0480026 0002371B
	v_add3_u32 v28, v27, v31, 1                                // 000000006EE8: D1FF001C 02063F1B
	v_cndmask_b32_e64 v21, v28, v30, s[38:39]                  // 000000006EF0: D1000015 009A3D1C
	v_perm_b32 v25, v21, v20, s51                              // 000000006EF8: D1ED0019 00CE2915
	ds_write_b64 v5, v[24:25] offset:2304                      // 000000006F00: D89A0900 00001805
	v_mov_b32_e32 v24, v165                                    // 000000006F08: 7E3003A5
	v_mov_b32_e32 v25, v169                                    // 000000006F0C: 7E3203A9
	v_mov_b32_e32 v26, v173                                    // 000000006F10: 7E3403AD
	v_mov_b32_e32 v27, v177                                    // 000000006F14: 7E3603B1
	v_cmp_u_f32_e64 s[38:39], v24, v24                         // 000000006F18: D0480026 00023118
	v_add3_u32 v28, v24, v31, 1                                // 000000006F20: D1FF001C 02063F18
	v_cndmask_b32_e64 v20, v28, v30, s[38:39]                  // 000000006F28: D1000014 009A3D1C
	v_cmp_u_f32_e64 s[38:39], v25, v25                         // 000000006F30: D0480026 00023319
	v_add3_u32 v28, v25, v31, 1                                // 000000006F38: D1FF001C 02063F19
	v_cndmask_b32_e64 v21, v28, v30, s[38:39]                  // 000000006F40: D1000015 009A3D1C
	v_perm_b32 v24, v21, v20, s51                              // 000000006F48: D1ED0018 00CE2915
	v_cmp_u_f32_e64 s[38:39], v26, v26                         // 000000006F50: D0480026 0002351A
	v_add3_u32 v28, v26, v31, 1                                // 000000006F58: D1FF001C 02063F1A
	v_cndmask_b32_e64 v20, v28, v30, s[38:39]                  // 000000006F60: D1000014 009A3D1C
	v_cmp_u_f32_e64 s[38:39], v27, v27                         // 000000006F68: D0480026 0002371B
	v_add3_u32 v28, v27, v31, 1                                // 000000006F70: D1FF001C 02063F1B
	v_cndmask_b32_e64 v21, v28, v30, s[38:39]                  // 000000006F78: D1000015 009A3D1C
	v_perm_b32 v25, v21, v20, s51                              // 000000006F80: D1ED0019 00CE2915
	ds_write_b64 v5, v[24:25] offset:3456                      // 000000006F88: D89A0D80 00001805
	v_mov_b32_e32 v24, v166                                    // 000000006F90: 7E3003A6
	v_mov_b32_e32 v25, v170                                    // 000000006F94: 7E3203AA
	v_mov_b32_e32 v26, v174                                    // 000000006F98: 7E3403AE
	v_mov_b32_e32 v27, v178                                    // 000000006F9C: 7E3603B2
	v_cmp_u_f32_e64 s[38:39], v24, v24                         // 000000006FA0: D0480026 00023118
	v_add3_u32 v28, v24, v31, 1                                // 000000006FA8: D1FF001C 02063F18
	v_cndmask_b32_e64 v20, v28, v30, s[38:39]                  // 000000006FB0: D1000014 009A3D1C
	v_cmp_u_f32_e64 s[38:39], v25, v25                         // 000000006FB8: D0480026 00023319
	v_add3_u32 v28, v25, v31, 1                                // 000000006FC0: D1FF001C 02063F19
	v_cndmask_b32_e64 v21, v28, v30, s[38:39]                  // 000000006FC8: D1000015 009A3D1C
	v_perm_b32 v24, v21, v20, s51                              // 000000006FD0: D1ED0018 00CE2915
	v_cmp_u_f32_e64 s[38:39], v26, v26                         // 000000006FD8: D0480026 0002351A
	v_add3_u32 v28, v26, v31, 1                                // 000000006FE0: D1FF001C 02063F1A
	v_cndmask_b32_e64 v20, v28, v30, s[38:39]                  // 000000006FE8: D1000014 009A3D1C
	v_cmp_u_f32_e64 s[38:39], v27, v27                         // 000000006FF0: D0480026 0002371B
	v_add3_u32 v28, v27, v31, 1                                // 000000006FF8: D1FF001C 02063F1B
	v_cndmask_b32_e64 v21, v28, v30, s[38:39]                  // 000000007000: D1000015 009A3D1C
	v_perm_b32 v25, v21, v20, s51                              // 000000007008: D1ED0019 00CE2915
	ds_write_b64 v5, v[24:25] offset:2448                      // 000000007010: D89A0990 00001805
	v_mov_b32_e32 v24, v167                                    // 000000007018: 7E3003A7
	v_mov_b32_e32 v25, v171                                    // 00000000701C: 7E3203AB
	v_mov_b32_e32 v26, v175                                    // 000000007020: 7E3403AF
	v_mov_b32_e32 v27, v179                                    // 000000007024: 7E3603B3
	v_cmp_u_f32_e64 s[38:39], v24, v24                         // 000000007028: D0480026 00023118
	v_add3_u32 v28, v24, v31, 1                                // 000000007030: D1FF001C 02063F18
	v_cndmask_b32_e64 v20, v28, v30, s[38:39]                  // 000000007038: D1000014 009A3D1C
	v_cmp_u_f32_e64 s[38:39], v25, v25                         // 000000007040: D0480026 00023319
	v_add3_u32 v28, v25, v31, 1                                // 000000007048: D1FF001C 02063F19
	v_cndmask_b32_e64 v21, v28, v30, s[38:39]                  // 000000007050: D1000015 009A3D1C
	v_perm_b32 v24, v21, v20, s51                              // 000000007058: D1ED0018 00CE2915
	v_cmp_u_f32_e64 s[38:39], v26, v26                         // 000000007060: D0480026 0002351A
	v_add3_u32 v28, v26, v31, 1                                // 000000007068: D1FF001C 02063F1A
	v_cndmask_b32_e64 v20, v28, v30, s[38:39]                  // 000000007070: D1000014 009A3D1C
	v_cmp_u_f32_e64 s[38:39], v27, v27                         // 000000007078: D0480026 0002371B
	v_add3_u32 v28, v27, v31, 1                                // 000000007080: D1FF001C 02063F1B
	v_cndmask_b32_e64 v21, v28, v30, s[38:39]                  // 000000007088: D1000015 009A3D1C
	v_perm_b32 v25, v21, v20, s51                              // 000000007090: D1ED0019 00CE2915
	ds_write_b64 v5, v[24:25] offset:3600                      // 000000007098: D89A0E10 00001805
	s_waitcnt lgkmcnt(4)                                       // 0000000070A0: BF8CC47F
	ds_read_b64 v[52:53], v4                                   // 0000000070A4: D8EC0000 34000004
	ds_read_b64 v[56:57], v4 offset:64                         // 0000000070AC: D8EC0040 38000004
	ds_read_b64 v[54:55], v4 offset:1152                       // 0000000070B4: D8EC0480 36000004
	ds_read_b64 v[58:59], v4 offset:1216                       // 0000000070BC: D8EC04C0 3A000004
	s_waitcnt lgkmcnt(4)                                       // 0000000070C4: BF8CC47F
	ds_read_b64 v[60:61], v4 offset:2304                       // 0000000070C8: D8EC0900 3C000004
	ds_read_b64 v[64:65], v4 offset:2368                       // 0000000070D0: D8EC0940 40000004
	ds_read_b64 v[62:63], v4 offset:3456                       // 0000000070D8: D8EC0D80 3E000004
	ds_read_b64 v[66:67], v4 offset:3520                       // 0000000070E0: D8EC0DC0 42000004
	s_waitcnt lgkmcnt(0)                                       // 0000000070E8: BF8CC07F
	v_mov_b32_e32 v18, v19                                     // 0000000070EC: 7E240313
	buffer_store_dwordx4 v[52:55], v18, s[88:91], 0 offen offset:768// 0000000070F0: E07C1300 80163412
	buffer_store_dwordx4 v[60:63], v18, s[88:91], 0 offen offset:896// 0000000070F8: E07C1380 80163C12
	v_add_u32_e32 v18, 0x2000, v18                             // 000000007100: 682424FF 00002000
	buffer_store_dwordx4 v[56:59], v18, s[88:91], 0 offen offset:768// 000000007108: E07C1300 80163812
	buffer_store_dwordx4 v[64:67], v18, s[88:91], 0 offen offset:896// 000000007110: E07C1380 80164012
	v_add_u32_e32 v18, 0x2000, v18                             // 000000007118: 682424FF 00002000
	s_branch label_1537                                        // 000000007120: BF8201AE

0000000000007124 <label_1389>:
	s_mov_b32 s75, 0x8000                                      // 000000007124: BECB00FF 00008000
	s_mul_i32 s76, s87, s75                                    // 00000000712C: 924C4B57
	s_mov_b32 s56, s76                                         // 000000007130: BEB8004C
	s_add_u32 s8, s56, s8                                      // 000000007134: 80080838
	s_addc_u32 s9, 0, s9                                       // 000000007138: 82090980
	s_sub_u32 s56, s81, s80                                    // 00000000713C: 80B85051
	s_mul_i32 s56, s56, s75                                    // 000000007140: 92384B38
	s_mov_b32 s10, s56                                         // 000000007144: BE8A0038
	v_and_b32_e32 v20, 15, v0                                  // 000000007148: 2628008F
	v_lshlrev_b32_e32 v18, 4, v20                              // 00000000714C: 24242884
	v_lshrrev_b32_e32 v20, 4, v0                               // 000000007150: 20280084
	v_mul_i32_i24_e32 v20, 0x800, v20                          // 000000007154: 0C2828FF 00000800
	v_add_u32_e32 v18, v18, v20                                // 00000000715C: 68242912
	s_mul_i32 s56, s7, s75                                     // 000000007160: 92384B07
	v_add_u32_e64 v18, v18, s56                                // 000000007164: D1340012 00007112
	v_mov_b32_e32 v19, v18                                     // 00000000716C: 7E260312
	s_mov_b32 s58, 64                                          // 000000007170: BEBA00C0
	s_mul_i32 s56, s58, s87                                    // 000000007174: 9238573A
	s_add_u32 s12, s56, s12                                    // 000000007178: 800C0C38
	s_addc_u32 s13, 0, s13                                     // 00000000717C: 820D0D80
	s_sub_u32 s56, s81, s80                                    // 000000007180: 80B85051
	s_mul_i32 s56, s56, s58                                    // 000000007184: 92383A38
	s_mov_b32 s14, s56                                         // 000000007188: BE8E0038
	v_and_b32_e32 v26, 15, v0                                  // 00000000718C: 2634008F
	v_lshlrev_b32_e32 v26, 2, v26                              // 000000007190: 24343482
	s_mul_i32 s56, s7, s57                                     // 000000007194: 92383907
	s_mul_i32 s57, s58, s7                                     // 000000007198: 9239073A
	v_add_u32_e64 v26, v26, s57                                // 00000000719C: D134001A 0000731A
	s_waitcnt vmcnt(0) lgkmcnt(0)                              // 0000000071A4: BF8C0070
	s_barrier                                                  // 0000000071A8: BF8A0000
	v_lshlrev_b32_e32 v5, 2, v0                                // 0000000071AC: 240A0082
	s_mul_i32 s56, s7, 0x840                                   // 0000000071B0: 9238FF07 00000840
	v_add_u32_e32 v5, s56, v5                                  // 0000000071B8: 680A0A38
	v_lshlrev_b32_e32 v5, 2, v5                                // 0000000071BC: 240A0A82
	v_lshrrev_b32_e32 v20, 4, v0                               // 0000000071C0: 20280084
	v_mul_i32_i24_e32 v4, 4, v20                               // 0000000071C4: 0C082884
	v_and_b32_e32 v20, 3, v0                                   // 0000000071C8: 26280083
	v_mul_i32_i24_e32 v20, 0x108, v20                          // 0000000071CC: 0C2828FF 00000108
	v_add_u32_e32 v4, v20, v4                                  // 0000000071D4: 68080914
	v_and_b32_e32 v20, 15, v0                                  // 0000000071D8: 2628008F
	v_lshrrev_b32_e32 v20, 2, v20                              // 0000000071DC: 20282882
	v_mul_i32_i24_e32 v20, 64, v20                             // 0000000071E0: 0C2828C0
	v_add_u32_e32 v4, v20, v4                                  // 0000000071E4: 68080914
	s_mul_i32 s56, s7, 0x840                                   // 0000000071E8: 9238FF07 00000840
	v_add_u32_e32 v4, s56, v4                                  // 0000000071F0: 68080838
	v_lshlrev_b32_e32 v4, 2, v4                                // 0000000071F4: 24080882
	s_mul_i32 s56, 0, s76                                      // 0000000071F8: 92384C80
	v_add_u32_e64 v19, v19, s56                                // 0000000071FC: D1340013 00007113
	v_mov_b32_e32 v20, v52                                     // 000000007204: 7E280334
	v_mov_b32_e32 v21, v56                                     // 000000007208: 7E2A0338
	v_mov_b32_e32 v22, v60                                     // 00000000720C: 7E2C033C
	v_mov_b32_e32 v23, v64                                     // 000000007210: 7E2E0340
	ds_write_b128 v5, v[20:23]                                 // 000000007214: D9BE0000 00001405
	v_mov_b32_e32 v20, v53                                     // 00000000721C: 7E280335
	v_mov_b32_e32 v21, v57                                     // 000000007220: 7E2A0339
	v_mov_b32_e32 v22, v61                                     // 000000007224: 7E2C033D
	v_mov_b32_e32 v23, v65                                     // 000000007228: 7E2E0341
	ds_write_b128 v5, v[20:23] offset:1056                     // 00000000722C: D9BE0420 00001405
	v_mov_b32_e32 v20, v54                                     // 000000007234: 7E280336
	v_mov_b32_e32 v21, v58                                     // 000000007238: 7E2A033A
	v_mov_b32_e32 v22, v62                                     // 00000000723C: 7E2C033E
	v_mov_b32_e32 v23, v66                                     // 000000007240: 7E2E0342
	ds_write_b128 v5, v[20:23] offset:2112                     // 000000007244: D9BE0840 00001405
	v_mov_b32_e32 v20, v55                                     // 00000000724C: 7E280337
	v_mov_b32_e32 v21, v59                                     // 000000007250: 7E2A033B
	v_mov_b32_e32 v22, v63                                     // 000000007254: 7E2C033F
	v_mov_b32_e32 v23, v67                                     // 000000007258: 7E2E0343
	ds_write_b128 v5, v[20:23] offset:3168                     // 00000000725C: D9BE0C60 00001405
	v_mov_b32_e32 v20, v68                                     // 000000007264: 7E280344
	v_mov_b32_e32 v21, v72                                     // 000000007268: 7E2A0348
	v_mov_b32_e32 v22, v76                                     // 00000000726C: 7E2C034C
	v_mov_b32_e32 v23, v80                                     // 000000007270: 7E2E0350
	ds_write_b128 v5, v[20:23] offset:4224                     // 000000007274: D9BE1080 00001405
	v_mov_b32_e32 v20, v69                                     // 00000000727C: 7E280345
	v_mov_b32_e32 v21, v73                                     // 000000007280: 7E2A0349
	v_mov_b32_e32 v22, v77                                     // 000000007284: 7E2C034D
	v_mov_b32_e32 v23, v81                                     // 000000007288: 7E2E0351
	ds_write_b128 v5, v[20:23] offset:5280                     // 00000000728C: D9BE14A0 00001405
	v_mov_b32_e32 v20, v70                                     // 000000007294: 7E280346
	v_mov_b32_e32 v21, v74                                     // 000000007298: 7E2A034A
	v_mov_b32_e32 v22, v78                                     // 00000000729C: 7E2C034E
	v_mov_b32_e32 v23, v82                                     // 0000000072A0: 7E2E0352
	ds_write_b128 v5, v[20:23] offset:6336                     // 0000000072A4: D9BE18C0 00001405
	v_mov_b32_e32 v20, v71                                     // 0000000072AC: 7E280347
	v_mov_b32_e32 v21, v75                                     // 0000000072B0: 7E2A034B
	v_mov_b32_e32 v22, v79                                     // 0000000072B4: 7E2C034F
	v_mov_b32_e32 v23, v83                                     // 0000000072B8: 7E2E0353
	ds_write_b128 v5, v[20:23] offset:7392                     // 0000000072BC: D9BE1CE0 00001405
	s_waitcnt lgkmcnt(4)                                       // 0000000072C4: BF8CC47F
	ds_read_b128 v[52:55], v4                                  // 0000000072C8: D9FE0000 34000004
	ds_read_b128 v[56:59], v4 offset:64                        // 0000000072D0: D9FE0040 38000004
	ds_read_b128 v[60:63], v4 offset:128                       // 0000000072D8: D9FE0080 3C000004
	ds_read_b128 v[64:67], v4 offset:192                       // 0000000072E0: D9FE00C0 40000004
	s_waitcnt lgkmcnt(4)                                       // 0000000072E8: BF8CC47F
	ds_read_b128 v[68:71], v4 offset:4224                      // 0000000072EC: D9FE1080 44000004
	ds_read_b128 v[72:75], v4 offset:4288                      // 0000000072F4: D9FE10C0 48000004
	ds_read_b128 v[76:79], v4 offset:4352                      // 0000000072FC: D9FE1100 4C000004
	ds_read_b128 v[80:83], v4 offset:4416                      // 000000007304: D9FE1140 50000004
	s_waitcnt lgkmcnt(0)                                       // 00000000730C: BF8CC07F
	v_mov_b32_e32 v18, v19                                     // 000000007310: 7E240313
	buffer_store_dwordx4 v[52:55], v18, s[8:11], 0 offen       // 000000007314: E07C1000 80023412
	buffer_store_dwordx4 v[68:71], v18, s[8:11], 0 offen offset:256// 00000000731C: E07C1100 80024412
	v_add_u32_e32 v18, 0x2000, v18                             // 000000007324: 682424FF 00002000
	buffer_store_dwordx4 v[56:59], v18, s[8:11], 0 offen       // 00000000732C: E07C1000 80023812
	buffer_store_dwordx4 v[72:75], v18, s[8:11], 0 offen offset:256// 000000007334: E07C1100 80024812
	v_add_u32_e32 v18, 0x2000, v18                             // 00000000733C: 682424FF 00002000
	buffer_store_dwordx4 v[60:63], v18, s[8:11], 0 offen       // 000000007344: E07C1000 80023C12
	buffer_store_dwordx4 v[76:79], v18, s[8:11], 0 offen offset:256// 00000000734C: E07C1100 80024C12
	v_add_u32_e32 v18, 0x2000, v18                             // 000000007354: 682424FF 00002000
	buffer_store_dwordx4 v[64:67], v18, s[8:11], 0 offen       // 00000000735C: E07C1000 80024012
	buffer_store_dwordx4 v[80:83], v18, s[8:11], 0 offen offset:256// 000000007364: E07C1100 80025012
	v_add_u32_e32 v18, 0x2000, v18                             // 00000000736C: 682424FF 00002000
	v_mov_b32_e32 v20, v84                                     // 000000007374: 7E280354
	v_mov_b32_e32 v21, v88                                     // 000000007378: 7E2A0358
	v_mov_b32_e32 v22, v92                                     // 00000000737C: 7E2C035C
	v_mov_b32_e32 v23, v96                                     // 000000007380: 7E2E0360
	ds_write_b128 v5, v[20:23]                                 // 000000007384: D9BE0000 00001405
	v_mov_b32_e32 v20, v85                                     // 00000000738C: 7E280355
	v_mov_b32_e32 v21, v89                                     // 000000007390: 7E2A0359
	v_mov_b32_e32 v22, v93                                     // 000000007394: 7E2C035D
	v_mov_b32_e32 v23, v97                                     // 000000007398: 7E2E0361
	ds_write_b128 v5, v[20:23] offset:1056                     // 00000000739C: D9BE0420 00001405
	v_mov_b32_e32 v20, v86                                     // 0000000073A4: 7E280356
	v_mov_b32_e32 v21, v90                                     // 0000000073A8: 7E2A035A
	v_mov_b32_e32 v22, v94                                     // 0000000073AC: 7E2C035E
	v_mov_b32_e32 v23, v98                                     // 0000000073B0: 7E2E0362
	ds_write_b128 v5, v[20:23] offset:2112                     // 0000000073B4: D9BE0840 00001405
	v_mov_b32_e32 v20, v87                                     // 0000000073BC: 7E280357
	v_mov_b32_e32 v21, v91                                     // 0000000073C0: 7E2A035B
	v_mov_b32_e32 v22, v95                                     // 0000000073C4: 7E2C035F
	v_mov_b32_e32 v23, v99                                     // 0000000073C8: 7E2E0363
	ds_write_b128 v5, v[20:23] offset:3168                     // 0000000073CC: D9BE0C60 00001405
	v_mov_b32_e32 v20, v100                                    // 0000000073D4: 7E280364
	v_mov_b32_e32 v21, v104                                    // 0000000073D8: 7E2A0368
	v_mov_b32_e32 v22, v108                                    // 0000000073DC: 7E2C036C
	v_mov_b32_e32 v23, v112                                    // 0000000073E0: 7E2E0370
	ds_write_b128 v5, v[20:23] offset:4224                     // 0000000073E4: D9BE1080 00001405
	v_mov_b32_e32 v20, v101                                    // 0000000073EC: 7E280365
	v_mov_b32_e32 v21, v105                                    // 0000000073F0: 7E2A0369
	v_mov_b32_e32 v22, v109                                    // 0000000073F4: 7E2C036D
	v_mov_b32_e32 v23, v113                                    // 0000000073F8: 7E2E0371
	ds_write_b128 v5, v[20:23] offset:5280                     // 0000000073FC: D9BE14A0 00001405
	v_mov_b32_e32 v20, v102                                    // 000000007404: 7E280366
	v_mov_b32_e32 v21, v106                                    // 000000007408: 7E2A036A
	v_mov_b32_e32 v22, v110                                    // 00000000740C: 7E2C036E
	v_mov_b32_e32 v23, v114                                    // 000000007410: 7E2E0372
	ds_write_b128 v5, v[20:23] offset:6336                     // 000000007414: D9BE18C0 00001405
	v_mov_b32_e32 v20, v103                                    // 00000000741C: 7E280367
	v_mov_b32_e32 v21, v107                                    // 000000007420: 7E2A036B
	v_mov_b32_e32 v22, v111                                    // 000000007424: 7E2C036F
	v_mov_b32_e32 v23, v115                                    // 000000007428: 7E2E0373
	ds_write_b128 v5, v[20:23] offset:7392                     // 00000000742C: D9BE1CE0 00001405
	s_waitcnt lgkmcnt(4)                                       // 000000007434: BF8CC47F
	ds_read_b128 v[52:55], v4                                  // 000000007438: D9FE0000 34000004
	ds_read_b128 v[56:59], v4 offset:64                        // 000000007440: D9FE0040 38000004
	ds_read_b128 v[60:63], v4 offset:128                       // 000000007448: D9FE0080 3C000004
	ds_read_b128 v[64:67], v4 offset:192                       // 000000007450: D9FE00C0 40000004
	s_waitcnt lgkmcnt(4)                                       // 000000007458: BF8CC47F
	ds_read_b128 v[68:71], v4 offset:4224                      // 00000000745C: D9FE1080 44000004
	ds_read_b128 v[72:75], v4 offset:4288                      // 000000007464: D9FE10C0 48000004
	ds_read_b128 v[76:79], v4 offset:4352                      // 00000000746C: D9FE1100 4C000004
	ds_read_b128 v[80:83], v4 offset:4416                      // 000000007474: D9FE1140 50000004
	s_waitcnt lgkmcnt(0)                                       // 00000000747C: BF8CC07F
	v_mov_b32_e32 v18, v19                                     // 000000007480: 7E240313
	buffer_store_dwordx4 v[52:55], v18, s[8:11], 0 offen offset:512// 000000007484: E07C1200 80023412
	buffer_store_dwordx4 v[68:71], v18, s[8:11], 0 offen offset:768// 00000000748C: E07C1300 80024412
	v_add_u32_e32 v18, 0x2000, v18                             // 000000007494: 682424FF 00002000
	buffer_store_dwordx4 v[56:59], v18, s[8:11], 0 offen offset:512// 00000000749C: E07C1200 80023812
	buffer_store_dwordx4 v[72:75], v18, s[8:11], 0 offen offset:768// 0000000074A4: E07C1300 80024812
	v_add_u32_e32 v18, 0x2000, v18                             // 0000000074AC: 682424FF 00002000
	buffer_store_dwordx4 v[60:63], v18, s[8:11], 0 offen offset:512// 0000000074B4: E07C1200 80023C12
	buffer_store_dwordx4 v[76:79], v18, s[8:11], 0 offen offset:768// 0000000074BC: E07C1300 80024C12
	v_add_u32_e32 v18, 0x2000, v18                             // 0000000074C4: 682424FF 00002000
	buffer_store_dwordx4 v[64:67], v18, s[8:11], 0 offen offset:512// 0000000074CC: E07C1200 80024012
	buffer_store_dwordx4 v[80:83], v18, s[8:11], 0 offen offset:768// 0000000074D4: E07C1300 80025012
	v_add_u32_e32 v18, 0x2000, v18                             // 0000000074DC: 682424FF 00002000
	v_mov_b32_e32 v20, v116                                    // 0000000074E4: 7E280374
	v_mov_b32_e32 v21, v120                                    // 0000000074E8: 7E2A0378
	v_mov_b32_e32 v22, v124                                    // 0000000074EC: 7E2C037C
	v_mov_b32_e32 v23, v128                                    // 0000000074F0: 7E2E0380
	ds_write_b128 v5, v[20:23]                                 // 0000000074F4: D9BE0000 00001405
	v_mov_b32_e32 v20, v117                                    // 0000000074FC: 7E280375
	v_mov_b32_e32 v21, v121                                    // 000000007500: 7E2A0379
	v_mov_b32_e32 v22, v125                                    // 000000007504: 7E2C037D
	v_mov_b32_e32 v23, v129                                    // 000000007508: 7E2E0381
	ds_write_b128 v5, v[20:23] offset:1056                     // 00000000750C: D9BE0420 00001405
	v_mov_b32_e32 v20, v118                                    // 000000007514: 7E280376
	v_mov_b32_e32 v21, v122                                    // 000000007518: 7E2A037A
	v_mov_b32_e32 v22, v126                                    // 00000000751C: 7E2C037E
	v_mov_b32_e32 v23, v130                                    // 000000007520: 7E2E0382
	ds_write_b128 v5, v[20:23] offset:2112                     // 000000007524: D9BE0840 00001405
	v_mov_b32_e32 v20, v119                                    // 00000000752C: 7E280377
	v_mov_b32_e32 v21, v123                                    // 000000007530: 7E2A037B
	v_mov_b32_e32 v22, v127                                    // 000000007534: 7E2C037F
	v_mov_b32_e32 v23, v131                                    // 000000007538: 7E2E0383
	ds_write_b128 v5, v[20:23] offset:3168                     // 00000000753C: D9BE0C60 00001405
	v_mov_b32_e32 v20, v132                                    // 000000007544: 7E280384
	v_mov_b32_e32 v21, v136                                    // 000000007548: 7E2A0388
	v_mov_b32_e32 v22, v140                                    // 00000000754C: 7E2C038C
	v_mov_b32_e32 v23, v144                                    // 000000007550: 7E2E0390
	ds_write_b128 v5, v[20:23] offset:4224                     // 000000007554: D9BE1080 00001405
	v_mov_b32_e32 v20, v133                                    // 00000000755C: 7E280385
	v_mov_b32_e32 v21, v137                                    // 000000007560: 7E2A0389
	v_mov_b32_e32 v22, v141                                    // 000000007564: 7E2C038D
	v_mov_b32_e32 v23, v145                                    // 000000007568: 7E2E0391
	ds_write_b128 v5, v[20:23] offset:5280                     // 00000000756C: D9BE14A0 00001405
	v_mov_b32_e32 v20, v134                                    // 000000007574: 7E280386
	v_mov_b32_e32 v21, v138                                    // 000000007578: 7E2A038A
	v_mov_b32_e32 v22, v142                                    // 00000000757C: 7E2C038E
	v_mov_b32_e32 v23, v146                                    // 000000007580: 7E2E0392
	ds_write_b128 v5, v[20:23] offset:6336                     // 000000007584: D9BE18C0 00001405
	v_mov_b32_e32 v20, v135                                    // 00000000758C: 7E280387
	v_mov_b32_e32 v21, v139                                    // 000000007590: 7E2A038B
	v_mov_b32_e32 v22, v143                                    // 000000007594: 7E2C038F
	v_mov_b32_e32 v23, v147                                    // 000000007598: 7E2E0393
	ds_write_b128 v5, v[20:23] offset:7392                     // 00000000759C: D9BE1CE0 00001405
	s_waitcnt lgkmcnt(4)                                       // 0000000075A4: BF8CC47F
	ds_read_b128 v[52:55], v4                                  // 0000000075A8: D9FE0000 34000004
	ds_read_b128 v[56:59], v4 offset:64                        // 0000000075B0: D9FE0040 38000004
	ds_read_b128 v[60:63], v4 offset:128                       // 0000000075B8: D9FE0080 3C000004
	ds_read_b128 v[64:67], v4 offset:192                       // 0000000075C0: D9FE00C0 40000004
	s_waitcnt lgkmcnt(4)                                       // 0000000075C8: BF8CC47F
	ds_read_b128 v[68:71], v4 offset:4224                      // 0000000075CC: D9FE1080 44000004
	ds_read_b128 v[72:75], v4 offset:4288                      // 0000000075D4: D9FE10C0 48000004
	ds_read_b128 v[76:79], v4 offset:4352                      // 0000000075DC: D9FE1100 4C000004
	ds_read_b128 v[80:83], v4 offset:4416                      // 0000000075E4: D9FE1140 50000004
	s_waitcnt lgkmcnt(0)                                       // 0000000075EC: BF8CC07F
	v_mov_b32_e32 v18, v19                                     // 0000000075F0: 7E240313
	buffer_store_dwordx4 v[52:55], v18, s[8:11], 0 offen offset:1024// 0000000075F4: E07C1400 80023412
	buffer_store_dwordx4 v[68:71], v18, s[8:11], 0 offen offset:1280// 0000000075FC: E07C1500 80024412
	v_add_u32_e32 v18, 0x2000, v18                             // 000000007604: 682424FF 00002000
	buffer_store_dwordx4 v[56:59], v18, s[8:11], 0 offen offset:1024// 00000000760C: E07C1400 80023812
	buffer_store_dwordx4 v[72:75], v18, s[8:11], 0 offen offset:1280// 000000007614: E07C1500 80024812
	v_add_u32_e32 v18, 0x2000, v18                             // 00000000761C: 682424FF 00002000
	buffer_store_dwordx4 v[60:63], v18, s[8:11], 0 offen offset:1024// 000000007624: E07C1400 80023C12
	buffer_store_dwordx4 v[76:79], v18, s[8:11], 0 offen offset:1280// 00000000762C: E07C1500 80024C12
	v_add_u32_e32 v18, 0x2000, v18                             // 000000007634: 682424FF 00002000
	buffer_store_dwordx4 v[64:67], v18, s[8:11], 0 offen offset:1024// 00000000763C: E07C1400 80024012
	buffer_store_dwordx4 v[80:83], v18, s[8:11], 0 offen offset:1280// 000000007644: E07C1500 80025012
	v_add_u32_e32 v18, 0x2000, v18                             // 00000000764C: 682424FF 00002000
	v_mov_b32_e32 v20, v148                                    // 000000007654: 7E280394
	v_mov_b32_e32 v21, v152                                    // 000000007658: 7E2A0398
	v_mov_b32_e32 v22, v156                                    // 00000000765C: 7E2C039C
	v_mov_b32_e32 v23, v160                                    // 000000007660: 7E2E03A0
	ds_write_b128 v5, v[20:23]                                 // 000000007664: D9BE0000 00001405
	v_mov_b32_e32 v20, v149                                    // 00000000766C: 7E280395
	v_mov_b32_e32 v21, v153                                    // 000000007670: 7E2A0399
	v_mov_b32_e32 v22, v157                                    // 000000007674: 7E2C039D
	v_mov_b32_e32 v23, v161                                    // 000000007678: 7E2E03A1
	ds_write_b128 v5, v[20:23] offset:1056                     // 00000000767C: D9BE0420 00001405
	v_mov_b32_e32 v20, v150                                    // 000000007684: 7E280396
	v_mov_b32_e32 v21, v154                                    // 000000007688: 7E2A039A
	v_mov_b32_e32 v22, v158                                    // 00000000768C: 7E2C039E
	v_mov_b32_e32 v23, v162                                    // 000000007690: 7E2E03A2
	ds_write_b128 v5, v[20:23] offset:2112                     // 000000007694: D9BE0840 00001405
	v_mov_b32_e32 v20, v151                                    // 00000000769C: 7E280397
	v_mov_b32_e32 v21, v155                                    // 0000000076A0: 7E2A039B
	v_mov_b32_e32 v22, v159                                    // 0000000076A4: 7E2C039F
	v_mov_b32_e32 v23, v163                                    // 0000000076A8: 7E2E03A3
	ds_write_b128 v5, v[20:23] offset:3168                     // 0000000076AC: D9BE0C60 00001405
	v_mov_b32_e32 v20, v164                                    // 0000000076B4: 7E2803A4
	v_mov_b32_e32 v21, v168                                    // 0000000076B8: 7E2A03A8
	v_mov_b32_e32 v22, v172                                    // 0000000076BC: 7E2C03AC
	v_mov_b32_e32 v23, v176                                    // 0000000076C0: 7E2E03B0
	ds_write_b128 v5, v[20:23] offset:4224                     // 0000000076C4: D9BE1080 00001405
	v_mov_b32_e32 v20, v165                                    // 0000000076CC: 7E2803A5
	v_mov_b32_e32 v21, v169                                    // 0000000076D0: 7E2A03A9
	v_mov_b32_e32 v22, v173                                    // 0000000076D4: 7E2C03AD
	v_mov_b32_e32 v23, v177                                    // 0000000076D8: 7E2E03B1
	ds_write_b128 v5, v[20:23] offset:5280                     // 0000000076DC: D9BE14A0 00001405
	v_mov_b32_e32 v20, v166                                    // 0000000076E4: 7E2803A6
	v_mov_b32_e32 v21, v170                                    // 0000000076E8: 7E2A03AA
	v_mov_b32_e32 v22, v174                                    // 0000000076EC: 7E2C03AE
	v_mov_b32_e32 v23, v178                                    // 0000000076F0: 7E2E03B2
	ds_write_b128 v5, v[20:23] offset:6336                     // 0000000076F4: D9BE18C0 00001405
	v_mov_b32_e32 v20, v167                                    // 0000000076FC: 7E2803A7
	v_mov_b32_e32 v21, v171                                    // 000000007700: 7E2A03AB
	v_mov_b32_e32 v22, v175                                    // 000000007704: 7E2C03AF
	v_mov_b32_e32 v23, v179                                    // 000000007708: 7E2E03B3
	ds_write_b128 v5, v[20:23] offset:7392                     // 00000000770C: D9BE1CE0 00001405
	s_waitcnt lgkmcnt(4)                                       // 000000007714: BF8CC47F
	ds_read_b128 v[52:55], v4                                  // 000000007718: D9FE0000 34000004
	ds_read_b128 v[56:59], v4 offset:64                        // 000000007720: D9FE0040 38000004
	ds_read_b128 v[60:63], v4 offset:128                       // 000000007728: D9FE0080 3C000004
	ds_read_b128 v[64:67], v4 offset:192                       // 000000007730: D9FE00C0 40000004
	s_waitcnt lgkmcnt(4)                                       // 000000007738: BF8CC47F
	ds_read_b128 v[68:71], v4 offset:4224                      // 00000000773C: D9FE1080 44000004
	ds_read_b128 v[72:75], v4 offset:4288                      // 000000007744: D9FE10C0 48000004
	ds_read_b128 v[76:79], v4 offset:4352                      // 00000000774C: D9FE1100 4C000004
	ds_read_b128 v[80:83], v4 offset:4416                      // 000000007754: D9FE1140 50000004
	s_waitcnt lgkmcnt(0)                                       // 00000000775C: BF8CC07F
	v_mov_b32_e32 v18, v19                                     // 000000007760: 7E240313
	buffer_store_dwordx4 v[52:55], v18, s[8:11], 0 offen offset:1536// 000000007764: E07C1600 80023412
	buffer_store_dwordx4 v[68:71], v18, s[8:11], 0 offen offset:1792// 00000000776C: E07C1700 80024412
	v_add_u32_e32 v18, 0x2000, v18                             // 000000007774: 682424FF 00002000
	buffer_store_dwordx4 v[56:59], v18, s[8:11], 0 offen offset:1536// 00000000777C: E07C1600 80023812
	buffer_store_dwordx4 v[72:75], v18, s[8:11], 0 offen offset:1792// 000000007784: E07C1700 80024812
	v_add_u32_e32 v18, 0x2000, v18                             // 00000000778C: 682424FF 00002000
	buffer_store_dwordx4 v[60:63], v18, s[8:11], 0 offen offset:1536// 000000007794: E07C1600 80023C12
	buffer_store_dwordx4 v[76:79], v18, s[8:11], 0 offen offset:1792// 00000000779C: E07C1700 80024C12
	v_add_u32_e32 v18, 0x2000, v18                             // 0000000077A4: 682424FF 00002000
	buffer_store_dwordx4 v[64:67], v18, s[8:11], 0 offen offset:1536// 0000000077AC: E07C1600 80024012
	buffer_store_dwordx4 v[80:83], v18, s[8:11], 0 offen offset:1792// 0000000077B4: E07C1700 80025012
	v_add_u32_e32 v18, 0x2000, v18                             // 0000000077BC: 682424FF 00002000
	v_mov_b32_e32 v20, v24                                     // 0000000077C4: 7E280318
	buffer_store_dword v24, v26, s[12:15], 0 offen             // 0000000077C8: E0701000 8003181A
	s_mul_i32 s56, 4, s77                                      // 0000000077D0: 92384D84
	v_add_u32_e64 v26, v26, s56                                // 0000000077D4: D134001A 0000711A

00000000000077dc <label_1537>:
	s_mov_b32 s56, 32                                          // 0000000077DC: BEB800A0
	s_addk_i32 s85, 0x1                                        // 0000000077E0: B7550001
	s_cmp_lt_i32 s85, s86                                      // 0000000077E4: BF045655
	s_cbranch_scc1 label_0029                                  // 0000000077E8: BF85EAEE

00000000000077ec <label_153B>:
	s_waitcnt vmcnt(0) expcnt(0) lgkmcnt(0)                    // 0000000077EC: BF8C0000
	s_endpgm                                                   // 0000000077F0: BF810000
